;; amdgpu-corpus repo=ROCm/rocFFT kind=compiled arch=gfx1201 opt=O3
	.text
	.amdgcn_target "amdgcn-amd-amdhsa--gfx1201"
	.amdhsa_code_object_version 6
	.protected	bluestein_single_back_len578_dim1_half_op_CI_CI ; -- Begin function bluestein_single_back_len578_dim1_half_op_CI_CI
	.globl	bluestein_single_back_len578_dim1_half_op_CI_CI
	.p2align	8
	.type	bluestein_single_back_len578_dim1_half_op_CI_CI,@function
bluestein_single_back_len578_dim1_half_op_CI_CI: ; @bluestein_single_back_len578_dim1_half_op_CI_CI
; %bb.0:
	s_load_b128 s[12:15], s[0:1], 0x28
	v_mul_u32_u24_e32 v1, 0x788, v0
	s_mov_b32 s2, exec_lo
	s_delay_alu instid0(VALU_DEP_1) | instskip(NEXT) | instid1(VALU_DEP_1)
	v_lshrrev_b32_e32 v1, 16, v1
	v_mad_co_u64_u32 v[16:17], null, ttmp9, 7, v[1:2]
	v_mov_b32_e32 v17, 0
                                        ; kill: def $vgpr2 killed $sgpr0 killed $exec
	s_wait_kmcnt 0x0
	s_delay_alu instid0(VALU_DEP_1)
	v_cmpx_gt_u64_e64 s[12:13], v[16:17]
	s_cbranch_execz .LBB0_10
; %bb.1:
	s_clause 0x1
	s_load_b128 s[4:7], s[0:1], 0x18
	s_load_b128 s[8:11], s[0:1], 0x0
	v_mul_lo_u16 v1, v1, 34
	s_delay_alu instid0(VALU_DEP_1) | instskip(NEXT) | instid1(VALU_DEP_1)
	v_sub_nc_u16 v27, v0, v1
	v_and_b32_e32 v64, 0xffff, v27
	s_wait_kmcnt 0x0
	s_load_b128 s[16:19], s[4:5], 0x0
	s_wait_kmcnt 0x0
	v_mad_co_u64_u32 v[0:1], null, s18, v16, 0
	v_mad_co_u64_u32 v[2:3], null, s16, v64, 0
	s_mul_u64 s[2:3], s[16:17], 0x88
	s_delay_alu instid0(VALU_DEP_1) | instskip(NEXT) | instid1(VALU_DEP_1)
	v_mad_co_u64_u32 v[4:5], null, s19, v16, v[1:2]
	v_mov_b32_e32 v1, v4
	s_delay_alu instid0(VALU_DEP_3)
	v_mad_co_u64_u32 v[5:6], null, s17, v64, v[3:4]
	v_lshlrev_b32_e32 v73, 2, v64
	s_clause 0x7
	global_load_b32 v69, v73, s[8:9]
	global_load_b32 v68, v73, s[8:9] offset:136
	global_load_b32 v67, v73, s[8:9] offset:272
	global_load_b32 v63, v73, s[8:9] offset:408
	global_load_b32 v61, v73, s[8:9] offset:544
	global_load_b32 v59, v73, s[8:9] offset:680
	global_load_b32 v57, v73, s[8:9] offset:816
	global_load_b32 v55, v73, s[8:9] offset:952
	v_mov_b32_e32 v3, v5
	v_lshlrev_b64_e32 v[0:1], 2, v[0:1]
	s_clause 0x7
	global_load_b32 v54, v73, s[8:9] offset:1088
	global_load_b32 v52, v73, s[8:9] offset:1224
	;; [unrolled: 1-line block ×8, first 2 shown]
	v_lshlrev_b64_e32 v[2:3], 2, v[2:3]
	v_add_co_u32 v0, vcc_lo, s14, v0
	v_add_co_ci_u32_e32 v1, vcc_lo, s15, v1, vcc_lo
	s_delay_alu instid0(VALU_DEP_2) | instskip(SKIP_1) | instid1(VALU_DEP_2)
	v_add_co_u32 v0, vcc_lo, v0, v2
	s_wait_alu 0xfffd
	v_add_co_ci_u32_e32 v1, vcc_lo, v1, v3, vcc_lo
	s_delay_alu instid0(VALU_DEP_2) | instskip(SKIP_1) | instid1(VALU_DEP_2)
	v_add_co_u32 v2, vcc_lo, v0, s2
	s_wait_alu 0xfffd
	v_add_co_ci_u32_e32 v3, vcc_lo, s3, v1, vcc_lo
	global_load_b32 v4, v[0:1], off
	v_add_co_u32 v0, vcc_lo, v2, s2
	s_wait_alu 0xfffd
	v_add_co_ci_u32_e32 v1, vcc_lo, s3, v3, vcc_lo
	global_load_b32 v5, v[2:3], off
	global_load_b32 v37, v73, s[8:9] offset:2176
	global_load_b32 v6, v[0:1], off
	v_add_co_u32 v0, vcc_lo, v0, s2
	s_wait_alu 0xfffd
	v_add_co_ci_u32_e32 v1, vcc_lo, s3, v1, vcc_lo
	s_delay_alu instid0(VALU_DEP_2) | instskip(SKIP_1) | instid1(VALU_DEP_2)
	v_add_co_u32 v2, vcc_lo, v0, s2
	s_wait_alu 0xfffd
	v_add_co_ci_u32_e32 v3, vcc_lo, s3, v1, vcc_lo
	global_load_b32 v7, v[0:1], off
	v_add_co_u32 v0, vcc_lo, v2, s2
	s_wait_alu 0xfffd
	v_add_co_ci_u32_e32 v1, vcc_lo, s3, v3, vcc_lo
	global_load_b32 v8, v[2:3], off
	global_load_b32 v9, v[0:1], off
	v_add_co_u32 v0, vcc_lo, v0, s2
	s_wait_alu 0xfffd
	v_add_co_ci_u32_e32 v1, vcc_lo, s3, v1, vcc_lo
	s_delay_alu instid0(VALU_DEP_2) | instskip(SKIP_1) | instid1(VALU_DEP_2)
	v_add_co_u32 v2, vcc_lo, v0, s2
	s_wait_alu 0xfffd
	v_add_co_ci_u32_e32 v3, vcc_lo, s3, v1, vcc_lo
	global_load_b32 v10, v[0:1], off
	global_load_b32 v11, v[2:3], off
	v_add_co_u32 v0, vcc_lo, v2, s2
	s_wait_alu 0xfffd
	v_add_co_ci_u32_e32 v1, vcc_lo, s3, v3, vcc_lo
	s_delay_alu instid0(VALU_DEP_2) | instskip(SKIP_1) | instid1(VALU_DEP_2)
	v_add_co_u32 v2, vcc_lo, v0, s2
	s_wait_alu 0xfffd
	v_add_co_ci_u32_e32 v3, vcc_lo, s3, v1, vcc_lo
	global_load_b32 v12, v[0:1], off
	v_add_co_u32 v0, vcc_lo, v2, s2
	s_wait_alu 0xfffd
	v_add_co_ci_u32_e32 v1, vcc_lo, s3, v3, vcc_lo
	global_load_b32 v13, v[2:3], off
	global_load_b32 v14, v[0:1], off
	v_add_co_u32 v0, vcc_lo, v0, s2
	s_wait_alu 0xfffd
	v_add_co_ci_u32_e32 v1, vcc_lo, s3, v1, vcc_lo
	s_delay_alu instid0(VALU_DEP_2) | instskip(SKIP_1) | instid1(VALU_DEP_2)
	v_add_co_u32 v2, vcc_lo, v0, s2
	s_wait_alu 0xfffd
	v_add_co_ci_u32_e32 v3, vcc_lo, s3, v1, vcc_lo
	global_load_b32 v15, v[0:1], off
	v_add_co_u32 v0, vcc_lo, v2, s2
	s_wait_alu 0xfffd
	v_add_co_ci_u32_e32 v1, vcc_lo, s3, v3, vcc_lo
	global_load_b32 v17, v[2:3], off
	;; [unrolled: 4-line block ×5, first 2 shown]
	global_load_b32 v1, v[2:3], off
	v_mul_hi_u32 v2, 0x24924925, v16
	v_cmp_gt_u16_e32 vcc_lo, 17, v27
	s_load_b128 s[4:7], s[6:7], 0x0
	s_delay_alu instid0(VALU_DEP_2) | instskip(NEXT) | instid1(VALU_DEP_1)
	v_sub_nc_u32_e32 v3, v16, v2
	v_lshrrev_b32_e32 v3, 1, v3
	s_delay_alu instid0(VALU_DEP_1) | instskip(NEXT) | instid1(VALU_DEP_1)
	v_add_nc_u32_e32 v2, v3, v2
	v_lshrrev_b32_e32 v2, 2, v2
	s_delay_alu instid0(VALU_DEP_1) | instskip(NEXT) | instid1(VALU_DEP_1)
	v_mul_lo_u32 v2, v2, 7
	v_sub_nc_u32_e32 v2, v16, v2
	s_delay_alu instid0(VALU_DEP_1) | instskip(NEXT) | instid1(VALU_DEP_1)
	v_mul_u32_u24_e32 v2, 0x242, v2
	v_lshlrev_b32_e32 v74, 2, v2
	s_delay_alu instid0(VALU_DEP_1) | instskip(NEXT) | instid1(VALU_DEP_1)
	v_add_nc_u32_e32 v40, v73, v74
	v_add_nc_u32_e32 v26, 0x400, v40
	s_wait_loadcnt 0x21
	v_lshrrev_b32_e32 v72, 16, v69
	s_wait_loadcnt 0x20
	v_lshrrev_b32_e32 v71, 16, v68
	;; [unrolled: 2-line block ×17, first 2 shown]
	v_mul_f16_e32 v3, v72, v4
	s_wait_loadcnt 0x10
	v_lshrrev_b32_e32 v21, 16, v5
	s_delay_alu instid0(VALU_DEP_3)
	v_mul_f16_e32 v20, v72, v2
	v_mul_f16_e32 v22, v71, v5
	v_fma_f16 v2, v69, v2, -v3
	s_wait_loadcnt 0xf
	v_lshrrev_b32_e32 v39, 16, v37
	v_mul_f16_e32 v3, v71, v21
	v_fmac_f16_e32 v20, v69, v4
	s_wait_loadcnt 0xe
	v_lshrrev_b32_e32 v4, 16, v6
	v_fma_f16 v21, v68, v21, -v22
	v_mul_f16_e32 v22, v70, v6
	v_fmac_f16_e32 v3, v68, v5
	v_pack_b32_f16 v2, v20, v2
	v_mul_f16_e32 v5, v70, v4
	s_wait_loadcnt 0xd
	v_lshrrev_b32_e32 v20, 16, v7
	v_mul_f16_e32 v23, v66, v7
	v_fma_f16 v4, v67, v4, -v22
	v_pack_b32_f16 v3, v3, v21
	v_fmac_f16_e32 v5, v67, v6
	v_mul_f16_e32 v6, v66, v20
	s_wait_loadcnt 0xc
	v_lshrrev_b32_e32 v21, 16, v8
	v_fma_f16 v20, v63, v20, -v23
	v_mul_f16_e32 v22, v65, v8
	ds_store_2addr_b32 v40, v2, v3 offset1:34
	v_pack_b32_f16 v2, v5, v4
	v_fmac_f16_e32 v6, v63, v7
	v_mul_f16_e32 v3, v65, v21
	s_wait_loadcnt 0xb
	v_lshrrev_b32_e32 v4, 16, v9
	v_mul_f16_e32 v5, v62, v9
	v_fma_f16 v7, v61, v21, -v22
	v_pack_b32_f16 v6, v6, v20
	v_fmac_f16_e32 v3, v61, v8
	v_mul_f16_e32 v8, v62, v4
	v_fma_f16 v4, v59, v4, -v5
	s_wait_loadcnt 0xa
	v_lshrrev_b32_e32 v5, 16, v10
	v_mul_f16_e32 v20, v60, v10
	ds_store_2addr_b32 v40, v2, v6 offset0:68 offset1:102
	v_pack_b32_f16 v2, v3, v7
	v_fmac_f16_e32 v8, v59, v9
	v_mul_f16_e32 v3, v60, v5
	s_wait_loadcnt 0x9
	v_lshrrev_b32_e32 v6, 16, v11
	v_mul_f16_e32 v7, v58, v11
	v_fma_f16 v5, v57, v5, -v20
	v_pack_b32_f16 v4, v8, v4
	v_fmac_f16_e32 v3, v57, v10
	v_mul_f16_e32 v8, v58, v6
	v_fma_f16 v6, v55, v6, -v7
	s_wait_loadcnt 0x8
	v_lshrrev_b32_e32 v7, 16, v12
	v_mul_f16_e32 v9, v56, v12
	ds_store_2addr_b32 v40, v2, v4 offset0:136 offset1:170
	;; [unrolled: 15-line block ×3, first 2 shown]
	v_pack_b32_f16 v2, v3, v7
	v_fmac_f16_e32 v8, v52, v13
	v_mul_f16_e32 v3, v51, v5
	s_wait_loadcnt 0x5
	v_lshrrev_b32_e32 v6, 16, v15
	v_mul_f16_e32 v7, v50, v15
	v_fma_f16 v5, v49, v5, -v9
	v_pack_b32_f16 v4, v8, v4
	v_fmac_f16_e32 v3, v49, v14
	v_mul_f16_e32 v8, v50, v6
	v_fma_f16 v6, v48, v6, -v7
	s_wait_loadcnt 0x4
	v_lshrrev_b32_e32 v7, 16, v17
	v_mul_f16_e32 v9, v47, v17
	v_pack_b32_f16 v3, v3, v5
	v_fmac_f16_e32 v8, v48, v15
	s_wait_loadcnt 0x3
	v_lshrrev_b32_e32 v5, 16, v18
	v_mul_f16_e32 v10, v47, v7
	v_fma_f16 v7, v46, v7, -v9
	v_mul_f16_e32 v9, v45, v18
	v_pack_b32_f16 v6, v8, v6
	v_mul_f16_e32 v8, v45, v5
	s_wait_loadcnt 0x2
	v_lshrrev_b32_e32 v11, 16, v19
	s_wait_loadcnt 0x1
	v_lshrrev_b32_e32 v12, 16, v0
	v_fma_f16 v5, v44, v5, -v9
	v_mul_f16_e32 v9, v43, v19
	s_wait_loadcnt 0x0
	v_lshrrev_b32_e32 v14, 16, v1
	v_mul_f16_e32 v13, v43, v11
	v_mul_f16_e32 v15, v41, v12
	v_fmac_f16_e32 v10, v46, v17
	v_fma_f16 v9, v42, v11, -v9
	v_mul_f16_e32 v11, v41, v0
	v_fmac_f16_e32 v8, v44, v18
	v_mul_f16_e32 v17, v39, v1
	v_mul_f16_e32 v18, v39, v14
	v_fmac_f16_e32 v13, v42, v19
	v_fma_f16 v11, v38, v12, -v11
	v_fmac_f16_e32 v15, v38, v0
	v_fma_f16 v0, v37, v14, -v17
	v_fmac_f16_e32 v18, v37, v1
	v_pack_b32_f16 v1, v10, v7
	v_pack_b32_f16 v5, v8, v5
	;; [unrolled: 1-line block ×5, first 2 shown]
	ds_store_2addr_b32 v26, v2, v4 offset0:16 offset1:50
	ds_store_2addr_b32 v26, v3, v6 offset0:84 offset1:118
	;; [unrolled: 1-line block ×4, first 2 shown]
	ds_store_b32 v40, v0 offset:2176
	global_wb scope:SCOPE_SE
	s_wait_dscnt 0x0
	s_wait_kmcnt 0x0
	s_barrier_signal -1
	s_barrier_wait -1
	global_inv scope:SCOPE_SE
	ds_load_2addr_b32 v[0:1], v40 offset1:34
	ds_load_b32 v32, v40 offset:2176
	ds_load_2addr_b32 v[4:5], v26 offset0:220 offset1:254
	ds_load_2addr_b32 v[14:15], v40 offset0:68 offset1:102
	;; [unrolled: 1-line block ×7, first 2 shown]
	global_wb scope:SCOPE_SE
	s_wait_dscnt 0x0
	s_barrier_signal -1
	s_barrier_wait -1
	global_inv scope:SCOPE_SE
	v_pk_add_f16 v34, v0, v1
	v_pk_add_f16 v19, v32, v1
	v_pk_add_f16 v18, v1, v32 neg_lo:[0,1] neg_hi:[0,1]
	v_pk_add_f16 v17, v5, v14
	v_pk_add_f16 v1, v14, v5 neg_lo:[0,1] neg_hi:[0,1]
	v_pk_add_f16 v14, v34, v14
	v_pk_add_f16 v23, v7, v12
	v_pk_add_f16 v22, v12, v7 neg_lo:[0,1] neg_hi:[0,1]
	v_pk_add_f16 v29, v9, v10
	v_pk_add_f16 v28, v10, v9 neg_lo:[0,1] neg_hi:[0,1]
	;; [unrolled: 5-line block ×3, first 2 shown]
	v_pk_add_f16 v12, v112, v12
	v_lshrrev_b32_e32 v34, 16, v19
	v_mul_f16_e32 v35, 0xb964, v18
	v_mul_f16_e32 v36, 0xbb29, v18
	;; [unrolled: 1-line block ×3, first 2 shown]
	v_pk_add_f16 v12, v12, v13
	v_mul_f16_e32 v76, 0xbbb2, v18
	v_mul_f16_e32 v77, 0xba62, v18
	;; [unrolled: 1-line block ×3, first 2 shown]
	v_lshrrev_b32_e32 v79, 16, v17
	v_pk_add_f16 v10, v12, v10
	v_mul_f16_e32 v80, 0xbbf7, v1
	v_mul_f16_e32 v81, 0xba62, v1
	;; [unrolled: 1-line block ×4, first 2 shown]
	v_pk_add_f16 v10, v10, v11
	v_mul_f16_e32 v84, 0x3bb2, v1
	v_mul_f16_e32 v85, 0x3b29, v1
	v_lshrrev_b32_e32 v86, 16, v21
	v_mul_f16_e32 v87, 0xba62, v20
	v_pk_add_f16 v10, v10, v2
	v_mul_f16_e32 v88, 0x31e1, v20
	v_mul_f16_e32 v89, 0x3bb2, v20
	;; [unrolled: 1-line block ×4, first 2 shown]
	v_pk_add_f16 v10, v10, v3
	v_mul_f16_e32 v92, 0xbbf7, v20
	v_lshrrev_b32_e32 v93, 16, v23
	v_mul_f16_e32 v94, 0xb1e1, v22
	v_mul_f16_e32 v95, 0x3bb2, v22
	;; [unrolled: 1-line block ×6, first 2 shown]
	v_lshrrev_b32_e32 v100, 16, v18
	v_pk_mul_f16 v102, 0x3b7639e9, v19
	v_pk_add_f16 v8, v10, v8
	v_lshrrev_b32_e32 v33, 16, v0
	v_lshrrev_b32_e32 v101, 16, v1
	v_pk_mul_f16 v103, 0x39e92de8, v17
	v_fmamk_f16 v113, v34, 0x39e9, v35
	v_fma_f16 v114, v34, 0x39e9, -v35
	v_fmamk_f16 v115, v34, 0x3722, v36
	v_fma_f16 v116, v34, 0x3722, -v36
	v_fmamk_f16 v117, v34, 0x2de8, v75
	v_fmamk_f16 v118, v34, 0xb461, v76
	;; [unrolled: 1-line block ×4, first 2 shown]
	v_fma_f16 v78, v34, 0xbacd, -v78
	v_fmamk_f16 v121, v79, 0x2de8, v80
	v_fma_f16 v80, v79, 0x2de8, -v80
	v_fmamk_f16 v122, v79, 0xb8d2, v81
	;; [unrolled: 2-line block ×8, first 2 shown]
	v_fma_f16 v88, v86, 0xbbdd, -v88
	v_fma_f16 v128, 0xb461, v86, v89
	v_fma_f16 v89, v86, 0xb461, -v89
	v_fma_f16 v129, 0x39e9, v86, v90
	;; [unrolled: 2-line block ×4, first 2 shown]
	v_fma_f16 v86, v86, 0x2de8, -v92
	v_fmamk_f16 v92, v93, 0xbbdd, v94
	v_fma_f16 v94, v93, 0xbbdd, -v94
	v_fma_f16 v132, 0xb461, v93, v95
	v_fma_f16 v95, v93, 0xb461, -v95
	v_fma_f16 v133, 0x3b76, v93, v96
	;; [unrolled: 2-line block ×5, first 2 shown]
	v_fma_f16 v93, v93, 0xb8d2, -v99
	v_mul_f16_e32 v99, 0xb5c8, v100
	v_pk_fma_f16 v36, 0xb964b5c8, v18, v102 op_sel:[0,0,1] op_sel_hi:[1,1,0] neg_lo:[0,1,0] neg_hi:[0,1,0]
	v_pk_fma_f16 v102, 0xb964b5c8, v18, v102 op_sel:[0,0,1] op_sel_hi:[1,1,0]
	v_mul_f16_e64 v138, 0xbb29, v100
	v_pk_add_f16 v8, v8, v9
	v_pk_add_f16 v25, v6, v13
	v_pk_add_f16 v24, v13, v6 neg_lo:[0,1] neg_hi:[0,1]
	v_lshrrev_b32_e32 v104, 16, v20
	v_pk_mul_f16 v105, 0x3722b8d2, v21
	v_mul_f16_e64 v137, 0xb964, v101
	v_pk_fma_f16 v14, 0xbbf7b964, v1, v103 op_sel:[0,0,1] op_sel_hi:[1,1,0] neg_lo:[0,1,0] neg_hi:[0,1,0]
	v_pk_fma_f16 v103, 0xbbf7b964, v1, v103 op_sel:[0,0,1] op_sel_hi:[1,1,0]
	v_mul_f16_e64 v139, 0xba62, v101
	v_add_f16_e32 v112, v33, v113
	v_add_f16_e32 v113, v33, v114
	;; [unrolled: 1-line block ×9, first 2 shown]
	v_fma_f16 v120, v19, 0x3b76, -v99
	v_fmac_f16_e32 v99, 0x3b76, v19
	v_pk_add_f16 v160, v0, v102 op_sel:[1,0] op_sel_hi:[0,1]
	v_bfi_b32 v102, 0xffff, v102, v36
	v_fma_f16 v162, v19, 0x3722, -v138
	v_pk_add_f16 v6, v8, v6
	v_lshrrev_b32_e32 v106, 16, v22
	v_pk_mul_f16 v107, 0x2de8bbdd, v23
	v_mul_f16_e64 v140, 0xbbf7, v100
	v_mul_f16_e64 v146, 0xbb29, v104
	v_pk_fma_f16 v147, 0xba62bb29, v20, v105 op_sel:[0,0,1] op_sel_hi:[1,1,0]
	v_pk_fma_f16 v15, 0xba62bb29, v20, v105 op_sel:[0,0,1] op_sel_hi:[1,1,0] neg_lo:[0,1,0] neg_hi:[0,1,0]
	v_mul_f16_e32 v105, 0x31e1, v104
	v_fma_f16 v159, v17, 0x39e9, -v137
	v_fmac_f16_e64 v137, 0x39e9, v17
	v_bfi_b32 v161, 0xffff, v103, v14
	v_fma_f16 v163, v17, 0xb8d2, -v139
	v_add_f16_e32 v13, v121, v112
	v_add_f16_e32 v112, v122, v114
	;; [unrolled: 1-line block ×5, first 2 shown]
	v_pk_add_f16 v102, v0, v102 op_sel:[1,0] op_sel_hi:[0,1]
	v_add_f16_e64 v114, v0, v162
	v_pk_add_f16 v6, v6, v7
	v_lshrrev_b32_e32 v108, 16, v24
	v_fma_f16 v75, v34, 0x2de8, -v75
	v_fma_f16 v76, v34, 0xb461, -v76
	;; [unrolled: 1-line block ×3, first 2 shown]
	v_mul_f16_e64 v141, 0xb1e1, v101
	v_mul_f16_e64 v142, 0xbbb2, v100
	v_mul_f16_e64 v151, 0xbbf7, v106
	v_pk_fma_f16 v152, 0xb1e1bbf7, v22, v107 op_sel:[0,0,1] op_sel_hi:[1,1,0]
	v_pk_fma_f16 v34, 0xb1e1bbf7, v22, v107 op_sel:[0,0,1] op_sel_hi:[1,1,0] neg_lo:[0,1,0] neg_hi:[0,1,0]
	v_mul_f16_e32 v107, 0x3bb2, v106
	v_fmac_f16_e64 v138, 0x3722, v19
	v_fma_f16 v164, v19, 0x2de8, -v140
	v_fma_f16 v172, v21, 0x3722, -v146
	v_fmac_f16_e64 v146, 0x3722, v21
	v_bfi_b32 v173, 0xffff, v147, v15
	v_fma_f16 v174, v21, 0xbbdd, -v105
	v_add_f16_e32 v81, v81, v115
	v_add_f16_e64 v12, v159, v79
	v_add_f16_e64 v79, v137, v99
	v_pk_add_f16 v99, v161, v102
	v_add_f16_e64 v102, v163, v114
	v_pk_add_f16 v4, v6, v4
	v_mul_f16_e64 v143, 0x3836, v101
	v_mul_f16_e64 v148, 0x3bb2, v104
	v_mul_f16_e64 v158, 0x3964, v108
	v_add_f16_e32 v75, v33, v75
	v_add_f16_e32 v76, v33, v76
	;; [unrolled: 1-line block ×3, first 2 shown]
	v_fmac_f16_e64 v139, 0xb8d2, v17
	v_fma_f16 v165, v17, 0xbbdd, -v141
	v_fmac_f16_e64 v140, 0x2de8, v19
	v_fma_f16 v166, v19, 0xb461, -v142
	v_fma_f16 v179, v23, 0x2de8, -v151
	v_fmac_f16_e64 v151, 0x2de8, v23
	v_bfi_b32 v180, 0xffff, v152, v34
	v_fma_f16 v181, v23, 0xb461, -v107
	v_add_f16_e32 v80, v80, v113
	v_add_f16_e32 v113, v123, v116
	v_add_f16_e64 v115, v0, v138
	v_add_f16_e64 v116, v0, v164
	v_add_f16_e32 v13, v85, v13
	v_add_f16_e32 v81, v88, v81
	v_add_f16_e64 v11, v172, v12
	v_add_f16_e64 v12, v146, v79
	v_pk_add_f16 v79, v173, v99
	v_add_f16_e64 v88, v174, v102
	v_pk_add_f16 v4, v4, v5
	v_lshrrev_b32_e32 v110, 16, v25
	v_mul_f16_e64 v144, 0xba62, v100
	v_mul_f16_e64 v149, 0x3964, v104
	;; [unrolled: 1-line block ×3, first 2 shown]
	v_fmac_f16_e64 v141, 0xbbdd, v17
	v_fma_f16 v167, v17, 0xbacd, -v143
	v_fma_f16 v175, v21, 0xb461, -v148
	v_add_f16_e32 v75, v82, v75
	v_add_f16_e32 v82, v124, v117
	;; [unrolled: 1-line block ×6, first 2 shown]
	v_add_f16_e64 v117, v0, v140
	v_add_f16_e64 v118, v0, v166
	;; [unrolled: 1-line block ×4, first 2 shown]
	v_add_f16_e32 v85, v127, v112
	v_add_f16_e32 v78, v86, v78
	;; [unrolled: 1-line block ×3, first 2 shown]
	v_add_f16_e64 v8, v179, v11
	v_add_f16_e64 v11, v151, v12
	v_pk_add_f16 v12, v180, v79
	v_add_f16_e64 v79, v181, v88
	v_pk_add_f16 v4, v4, v32
	v_fma_f16 v32, v25, 0x39e9, -v158
	v_mul_f16_e32 v92, 0x3964, v24
	v_mul_f16_e64 v145, 0x3bb2, v101
	v_mul_f16_e32 v100, 0xb836, v100
	v_mul_f16_e64 v154, 0xbb29, v106
	v_fmac_f16_e64 v142, 0xb461, v19
	v_fma_f16 v168, v19, 0xb8d2, -v144
	v_fmac_f16_e64 v148, 0xb461, v21
	v_fma_f16 v176, v21, 0x39e9, -v149
	v_fma_f16 v182, v23, 0x3b76, -v153
	v_pk_add_f16 v103, v103, v160
	v_add_f16_e64 v116, v141, v117
	v_add_f16_e64 v117, v167, v118
	v_add_f16_e32 v80, v87, v80
	v_add_f16_e64 v87, v128, v113
	v_add_f16_e32 v76, v90, v76
	v_add_f16_e32 v77, v91, v77
	v_add_f16_e64 v84, v131, v84
	v_add_f16_e64 v90, v175, v115
	;; [unrolled: 1-line block ×3, first 2 shown]
	v_add_f16_e32 v81, v95, v81
	v_add_f16_e32 v78, v93, v78
	v_mul_f16_e32 v93, 0xbb29, v108
	v_add_f16_e32 v32, v32, v79
	v_fmamk_f16 v79, v110, 0x39e9, v92
	v_fma_f16 v92, v110, 0x39e9, -v92
	v_mul_f16_e32 v95, 0xbb29, v24
	v_mul_f16_e32 v101, 0x3b29, v101
	v_mul_f16_e64 v150, 0xb5c8, v104
	v_fmac_f16_e64 v143, 0xbacd, v17
	v_fma_f16 v169, v17, 0xb461, -v145
	v_fmac_f16_e64 v144, 0xb8d2, v19
	v_fma_f16 v170, v19, 0xbacd, -v100
	v_fmac_f16_e32 v100, 0xbacd, v19
	v_fmac_f16_e64 v153, 0x3b76, v23
	v_fma_f16 v183, v23, 0x3722, -v154
	v_add_f16_e64 v119, v0, v142
	v_add_f16_e64 v120, v0, v168
	v_add_f16_e32 v75, v89, v75
	v_add_f16_e64 v82, v129, v82
	v_add_f16_e64 v83, v130, v83
	v_pk_add_f16 v86, v147, v103
	v_add_f16_e64 v91, v148, v116
	v_add_f16_e64 v99, v176, v117
	v_add_f16_e32 v80, v94, v80
	v_add_f16_e64 v87, v133, v87
	v_add_f16_e32 v9, v98, v77
	v_add_f16_e64 v77, v136, v84
	v_add_f16_e64 v84, v182, v90
	v_fma_f16 v94, v25, 0x3722, -v93
	v_add_f16_e32 v79, v79, v85
	v_add_f16_e32 v81, v92, v81
	v_fmamk_f16 v85, v110, 0x3722, v95
	v_mul_f16_e32 v92, 0xb1e1, v108
	v_mul_f16_e32 v104, 0xbbf7, v104
	v_mul_f16_e64 v155, 0xb836, v106
	v_fmac_f16_e64 v145, 0xb461, v17
	v_fma_f16 v171, v17, 0x3722, -v101
	v_fmac_f16_e32 v101, 0x3722, v17
	v_fmac_f16_e32 v105, 0xbbdd, v21
	v_fmac_f16_e64 v149, 0x39e9, v21
	v_fma_f16 v177, v21, 0x3b76, -v150
	v_add_f16_e64 v121, v0, v144
	v_add_f16_e64 v122, v0, v170
	v_add_f16_e32 v100, v0, v100
	v_add_f16_e64 v118, v143, v119
	v_add_f16_e64 v119, v169, v120
	v_add_f16_e32 v10, v96, v75
	v_add_f16_e64 v75, v134, v82
	v_add_f16_e64 v82, v135, v83
	v_pk_add_f16 v83, v152, v86
	v_add_f16_e64 v86, v153, v91
	v_add_f16_e64 v88, v183, v99
	v_add_f16_e32 v84, v94, v84
	v_fmac_f16_e32 v93, 0x3722, v25
	v_fma_f16 v94, v110, 0x3722, -v95
	v_mul_f16_e32 v95, 0xb1e1, v24
	v_add_f16_e32 v85, v85, v87
	v_fma_f16 v87, v25, 0xbbdd, -v92
	v_mul_f16_e32 v106, 0x3a62, v106
	v_fmac_f16_e64 v150, 0x3b76, v21
	v_fma_f16 v178, v21, 0x2de8, -v104
	v_fmac_f16_e32 v107, 0xb461, v23
	v_fmac_f16_e64 v154, 0x3722, v23
	v_fma_f16 v184, v23, 0xbacd, -v155
	v_add_f16_e64 v120, v145, v121
	v_add_f16_e64 v121, v171, v122
	v_add_f16_e32 v100, v101, v100
	v_add_f16_e32 v89, v105, v114
	v_add_f16_e64 v101, v149, v118
	v_add_f16_e64 v102, v177, v119
	v_add_f16_e32 v76, v97, v76
	v_add_f16_e32 v86, v93, v86
	;; [unrolled: 1-line block ×3, first 2 shown]
	v_fmamk_f16 v93, v110, 0xbbdd, v95
	v_mul_f16_e32 v94, 0x3bf7, v108
	v_add_f16_e32 v87, v87, v88
	v_fma_f16 v88, v110, 0xbbdd, -v95
	v_fmac_f16_e32 v104, 0x2de8, v21
	v_fmac_f16_e64 v155, 0xbacd, v23
	v_fma_f16 v185, v23, 0xb8d2, -v106
	v_add_f16_e64 v103, v150, v120
	v_add_f16_e64 v105, v178, v121
	v_add_f16_e32 v7, v107, v89
	v_add_f16_e64 v6, v154, v101
	v_add_f16_e64 v89, v184, v102
	v_fmac_f16_e32 v92, 0xbbdd, v25
	v_add_f16_e32 v75, v93, v75
	v_fma_f16 v93, v25, 0x2de8, -v94
	v_mul_f16_e32 v95, 0x3bf7, v24
	v_add_f16_e32 v76, v88, v76
	v_mul_f16_e32 v88, 0xb5c8, v108
	v_pk_mul_f16 v109, 0xb461bacd, v25
	v_fmac_f16_e32 v106, 0xb8d2, v23
	v_add_f16_e32 v100, v104, v100
	v_add_f16_e64 v90, v155, v103
	v_add_f16_e64 v91, v185, v105
	v_add_f16_e32 v6, v92, v6
	v_add_f16_e32 v89, v93, v89
	v_fmamk_f16 v92, v110, 0x2de8, v95
	v_fmac_f16_e32 v94, 0x2de8, v25
	v_fma_f16 v93, v110, 0x2de8, -v95
	v_fma_f16 v95, v25, 0x3b76, -v88
	v_mul_f16_e32 v96, 0xb5c8, v24
	v_mul_f16_e64 v156, 0xbbb2, v108
	v_pk_fma_f16 v35, 0x3836bbb2, v24, v109 op_sel:[0,0,1] op_sel_hi:[1,1,0] neg_lo:[0,1,0] neg_hi:[0,1,0]
	v_pk_fma_f16 v109, 0x3836bbb2, v24, v109 op_sel:[0,0,1] op_sel_hi:[1,1,0]
	v_add_f16_e32 v5, v106, v100
	v_add_f16_e32 v82, v92, v82
	;; [unrolled: 1-line block ×5, first 2 shown]
	v_fmamk_f16 v92, v110, 0x3b76, v96
	v_lshrrev_b32_e32 v93, 16, v28
	v_fmac_f16_e32 v88, 0x3b76, v25
	v_fma_f16 v94, v110, 0x3b76, -v96
	v_pk_mul_f16 v95, 0xb8d2b461, v29
	v_mul_f16_e32 v111, 0x3836, v24
	v_fma_f16 v186, v25, 0xb461, -v156
	v_fmac_f16_e64 v156, 0xb461, v25
	v_bfi_b32 v187, 0xffff, v109, v35
	v_add_f16_e32 v77, v92, v77
	v_mul_f16_e32 v92, 0xba62, v93
	v_add_f16_e32 v88, v88, v5
	v_add_f16_e32 v78, v94, v78
	v_pk_fma_f16 v94, 0x3bb2ba62, v28, v95 op_sel:[0,0,1] op_sel_hi:[1,1,0] neg_lo:[0,1,0] neg_hi:[0,1,0]
	v_pk_fma_f16 v5, 0x3bb2ba62, v28, v95 op_sel:[0,0,1] op_sel_hi:[1,1,0]
	v_fma_f16 v157, 0xbacd, v110, v111
	v_add_f16_e64 v8, v186, v8
	v_add_f16_e64 v11, v156, v11
	v_pk_add_f16 v12, v187, v12
	v_fma_f16 v95, v29, 0xb8d2, -v92
	v_fmac_f16_e32 v92, 0xb8d2, v29
	v_lshrrev_b32_e32 v96, 16, v29
	v_mul_f16_e32 v97, 0x3bb2, v28
	v_bfi_b32 v98, 0xffff, v5, v94
	v_fma_f16 v111, v110, 0xbacd, -v111
	v_add_f16_e64 v13, v157, v13
	v_pk_add_f16 v83, v109, v83
	v_fmac_f16_e64 v158, 0x39e9, v25
	v_add_f16_e32 v8, v95, v8
	v_add_f16_e32 v11, v92, v11
	v_mul_f16_e32 v92, 0xb5c8, v93
	v_fmamk_f16 v95, v96, 0xb461, v97
	v_pk_add_f16 v12, v98, v12
	v_mul_f16_e32 v98, 0xb5c8, v28
	v_add_f16_e32 v80, v111, v80
	v_add_f16_e64 v7, v158, v7
	v_fma_f16 v97, v96, 0xb461, -v97
	v_fma_f16 v99, v29, 0x3b76, -v92
	v_add_f16_e32 v13, v95, v13
	v_pk_add_f16 v5, v5, v83
	v_fmamk_f16 v83, v96, 0x3b76, v98
	v_mul_f16_e32 v95, 0xb836, v93
	v_fmac_f16_e32 v92, 0x3b76, v29
	v_add_f16_e32 v80, v97, v80
	v_fma_f16 v97, v96, 0x3b76, -v98
	v_add_f16_e32 v79, v83, v79
	v_mul_f16_e32 v83, 0xb836, v28
	v_fma_f16 v98, v29, 0xbacd, -v95
	v_add_f16_e32 v7, v92, v7
	v_mul_f16_e32 v92, 0x3bf7, v93
	v_add_f16_e32 v81, v97, v81
	v_fmamk_f16 v97, v96, 0xbacd, v83
	v_add_f16_e32 v84, v98, v84
	v_fma_f16 v83, v96, 0xbacd, -v83
	v_fma_f16 v98, v29, 0x2de8, -v92
	v_fmac_f16_e32 v95, 0xbacd, v29
	v_add_f16_e32 v85, v97, v85
	v_mul_f16_e32 v97, 0x3bf7, v28
	v_add_f16_e32 v10, v83, v10
	v_add_f16_e32 v83, v98, v87
	v_mul_f16_e32 v87, 0xb964, v93
	v_fmac_f16_e32 v92, 0x2de8, v29
	v_mul_f16_e32 v98, 0xb964, v28
	v_add_f16_e32 v32, v99, v32
	v_add_f16_e32 v86, v95, v86
	v_fmamk_f16 v95, v96, 0x2de8, v97
	v_fma_f16 v97, v96, 0x2de8, -v97
	v_fma_f16 v99, v29, 0x39e9, -v87
	v_add_f16_e32 v6, v92, v6
	v_fmamk_f16 v92, v96, 0x39e9, v98
	v_mul_f16_e32 v93, 0xb1e1, v93
	v_fmac_f16_e32 v87, 0x39e9, v29
	v_add_f16_e32 v75, v95, v75
	v_add_f16_e32 v76, v97, v76
	;; [unrolled: 1-line block ×3, first 2 shown]
	v_mul_f16_e32 v92, 0xb1e1, v28
	v_fma_f16 v95, v96, 0x39e9, -v98
	v_fma_f16 v97, v29, 0xbbdd, -v93
	v_add_f16_e32 v87, v87, v90
	v_lshrrev_b32_e32 v90, 16, v30
	v_fmamk_f16 v98, v96, 0xbbdd, v92
	v_add_f16_e32 v9, v95, v9
	v_add_f16_e32 v91, v97, v91
	v_fmac_f16_e32 v93, 0xbbdd, v29
	v_mul_f16_e32 v95, 0xb836, v90
	v_pk_mul_f16 v97, 0xbacd3722, v31
	v_add_f16_e32 v89, v99, v89
	v_add_f16_e32 v77, v98, v77
	v_fma_f16 v92, v96, 0xbbdd, -v92
	v_add_f16_e32 v88, v93, v88
	v_fma_f16 v93, v31, 0xbacd, -v95
	v_fmac_f16_e32 v95, 0xbacd, v31
	v_pk_fma_f16 v96, 0x3b29b836, v30, v97 op_sel:[0,0,1] op_sel_hi:[1,1,0] neg_lo:[0,1,0] neg_hi:[0,1,0]
	v_pk_fma_f16 v97, 0x3b29b836, v30, v97 op_sel:[0,0,1] op_sel_hi:[1,1,0]
	v_lshrrev_b32_e32 v98, 16, v31
	v_mul_f16_e32 v99, 0x3b29, v30
	v_add_f16_e32 v78, v92, v78
	v_add_f16_e32 v8, v93, v8
	;; [unrolled: 1-line block ×3, first 2 shown]
	v_bfi_b32 v92, 0xffff, v97, v96
	v_fmamk_f16 v93, v98, 0x3722, v99
	v_mul_f16_e32 v95, 0xbbf7, v90
	v_fma_f16 v99, v98, 0x3722, -v99
	v_mul_f16_e32 v100, 0xbbf7, v30
	v_pk_add_f16 v12, v92, v12
	v_add_f16_e32 v13, v93, v13
	v_fma_f16 v92, v31, 0x2de8, -v95
	v_add_f16_e32 v80, v99, v80
	v_fmamk_f16 v93, v98, 0x2de8, v100
	v_mul_f16_e32 v99, 0x3a62, v90
	v_fmac_f16_e32 v95, 0x2de8, v31
	v_add_f16_e32 v32, v92, v32
	v_mul_f16_e32 v92, 0x3a62, v30
	v_add_f16_e32 v79, v93, v79
	v_fma_f16 v93, v31, 0xb8d2, -v99
	v_add_f16_e32 v7, v95, v7
	v_mul_f16_e32 v95, 0xb5c8, v90
	v_add_f16_e32 v33, v33, v36
	v_fmamk_f16 v101, v98, 0xb8d2, v92
	v_add_f16_e32 v84, v93, v84
	v_fma_f16 v92, v98, 0xb8d2, -v92
	v_fma_f16 v93, v31, 0x3b76, -v95
	v_mul_f16_e32 v36, 0x3964, v30
	v_add_f16_e32 v14, v14, v33
	v_pk_mul_f16 v19, 0xbbdd, v19 op_sel_hi:[0,1]
	v_add_f16_e32 v10, v92, v10
	v_add_f16_e32 v83, v93, v83
	v_mul_f16_e32 v93, 0xb1e1, v30
	v_mul_f16_e32 v92, 0xb1e1, v90
	v_fmamk_f16 v33, v98, 0x39e9, v36
	v_add_f16_e32 v14, v15, v14
	v_mul_f16_e32 v90, 0x3964, v90
	v_fmamk_f16 v103, v98, 0xbbdd, v93
	v_fma_f16 v93, v98, 0xbbdd, -v93
	v_fma_f16 v102, v31, 0xbbdd, -v92
	v_fmac_f16_e32 v92, 0xbbdd, v31
	v_add_f16_e32 v15, v33, v77
	v_add_f16_e32 v14, v34, v14
	;; [unrolled: 1-line block ×3, first 2 shown]
	v_pk_add_f16 v93, v2, v3 neg_lo:[0,1] neg_hi:[0,1]
	v_pk_add_f16 v2, v3, v2
	v_add_f16_e32 v87, v92, v87
	v_fma_f16 v92, v31, 0x39e9, -v90
	v_fmac_f16_e32 v90, 0x39e9, v31
	v_lshrrev_b32_e32 v77, 16, v93
	v_fma_f16 v34, v98, 0x39e9, -v36
	v_add_f16_e32 v14, v35, v14
	v_pk_mul_f16 v35, 0xbbdd3b76, v2
	v_add_f16_e32 v36, v90, v88
	v_mul_f16_e32 v3, 0xb1e1, v77
	v_add_f16_e32 v34, v34, v78
	v_add_f16_e32 v91, v92, v91
	v_pk_fma_f16 v88, 0x35c8b1e1, v93, v35 op_sel:[0,0,1] op_sel_hi:[1,1,0] neg_lo:[0,1,0] neg_hi:[0,1,0]
	v_pk_fma_f16 v90, 0x35c8b1e1, v93, v35 op_sel:[0,0,1] op_sel_hi:[1,1,0]
	v_fma_f16 v78, v2, 0xbbdd, -v3
	v_fmac_f16_e32 v3, 0xbbdd, v2
	v_add_f16_e32 v14, v94, v14
	v_mul_f16_e32 v92, 0x35c8, v93
	v_fmac_f16_e32 v99, 0xb8d2, v31
	v_add_f16_e32 v8, v78, v8
	v_bfi_b32 v78, 0xffff, v90, v88
	v_lshrrev_b32_e32 v90, 16, v2
	v_add_f16_e32 v3, v3, v11
	v_add_f16_e32 v11, v96, v14
	v_pk_fma_f16 v14, 0xb1e1, v18, v19 op_sel:[0,0,1] op_sel_hi:[0,1,0] neg_lo:[0,1,0] neg_hi:[0,1,0]
	v_pk_fma_f16 v18, 0xb1e1, v18, v19 op_sel:[0,0,1] op_sel_hi:[0,1,0]
	v_pk_add_f16 v12, v78, v12
	v_fmamk_f16 v19, v90, 0x3b76, v92
	v_mul_f16_e32 v78, 0xb836, v77
	v_add_f16_e32 v11, v88, v11
	v_pk_add_f16 v14, v0, v14 op_sel:[1,0] op_sel_hi:[0,1]
	v_fma_f16 v88, v90, 0x3b76, -v92
	v_pk_add_f16 v0, v0, v18 op_sel:[1,0] op_sel_hi:[0,1]
	v_mul_f16_e32 v18, 0xbacd, v90
	v_add_f16_e32 v13, v19, v13
	v_fma_f16 v19, v2, 0xbacd, -v78
	v_add_f16_e32 v80, v88, v80
	v_mul_f16_e32 v88, 0x3964, v77
	v_fmamk_f16 v92, v93, 0xb836, v18
	v_fmac_f16_e32 v78, 0xbacd, v2
	v_add_f16_e32 v19, v19, v32
	v_mul_f16_e32 v32, 0x3964, v93
	v_add_f16_e32 v85, v101, v85
	v_add_f16_e32 v86, v99, v86
	v_mul_f16_e32 v99, 0xb5c8, v30
	v_fma_f16 v94, v2, 0x39e9, -v88
	v_add_f16_e32 v79, v92, v79
	v_add_f16_e32 v7, v78, v7
	v_mul_f16_e32 v78, 0xba62, v77
	v_fmamk_f16 v92, v90, 0x39e9, v32
	v_fmamk_f16 v101, v98, 0x3b76, v99
	v_add_f16_e32 v84, v94, v84
	v_fmac_f16_e32 v88, 0x39e9, v2
	v_fma_f16 v32, v90, 0x39e9, -v32
	v_fma_f16 v94, v2, 0xb8d2, -v78
	v_add_f16_e32 v85, v92, v85
	v_mul_f16_e32 v92, 0xba62, v93
	v_fmac_f16_e32 v95, 0x3b76, v31
	v_add_f16_e32 v75, v101, v75
	v_add_f16_e32 v86, v88, v86
	v_add_f16_e32 v10, v32, v10
	v_add_f16_e32 v32, v94, v83
	v_mul_f16_e32 v83, 0x3b29, v77
	v_fmamk_f16 v88, v90, 0xb8d2, v92
	v_mul_f16_e32 v94, 0x3b29, v93
	v_add_f16_e32 v6, v95, v6
	v_add_f16_e32 v89, v102, v89
	;; [unrolled: 1-line block ×3, first 2 shown]
	v_fmac_f16_e32 v78, 0xb8d2, v2
	v_fma_f16 v95, v2, 0x3722, -v83
	v_add_f16_e32 v88, v88, v75
	v_fmamk_f16 v75, v90, 0x3722, v94
	v_fmac_f16_e32 v83, 0x3722, v2
	v_add_f16_e32 v6, v78, v6
	v_add_f16_e32 v78, v95, v89
	v_mul_f16_e32 v89, 0xbbb2, v93
	v_add_f16_e32 v82, v75, v82
	v_fma_f16 v75, v90, 0x3722, -v94
	v_add_f16_e32 v83, v83, v87
	v_pk_mul_f16 v17, 0x3b76, v17 op_sel_hi:[0,1]
	v_fmamk_f16 v87, v90, 0xb461, v89
	v_fma_f16 v99, v98, 0x3b76, -v99
	v_add_f16_e32 v9, v75, v9
	v_mul_lo_u16 v75, v27, 17
	v_fma_f16 v92, v90, 0xb8d2, -v92
	v_add_f16_e32 v15, v87, v15
	v_pk_fma_f16 v87, 0x35c8, v1, v17 op_sel:[0,0,1] op_sel_hi:[0,1,0] neg_lo:[0,1,0] neg_hi:[0,1,0]
	v_pk_fma_f16 v1, 0x35c8, v1, v17 op_sel:[0,0,1] op_sel_hi:[0,1,0]
	v_pk_mul_f16 v17, 0xbacd, v21 op_sel_hi:[0,1]
	v_and_b32_e32 v21, 0xffff, v75
	v_add_f16_e32 v76, v99, v76
	v_pk_add_f16 v14, v87, v14
	v_pk_add_f16 v0, v1, v0
	v_pk_fma_f16 v1, 0xb836, v20, v17 op_sel:[0,0,1] op_sel_hi:[0,1,0] neg_lo:[0,1,0] neg_hi:[0,1,0]
	v_lshl_add_u32 v75, v21, 2, v74
	v_pk_fma_f16 v17, 0xb836, v20, v17 op_sel:[0,0,1] op_sel_hi:[0,1,0]
	v_pk_mul_f16 v21, 0x39e9, v23 op_sel_hi:[0,1]
	v_mul_f16_e32 v77, 0xbbb2, v77
	v_pk_add_f16 v1, v1, v14
	v_add_f16_e32 v76, v92, v76
	v_pk_add_f16 v0, v17, v0
	v_pk_fma_f16 v17, 0x3964, v22, v21 op_sel:[0,0,1] op_sel_hi:[0,1,0] neg_lo:[0,1,0] neg_hi:[0,1,0]
	v_pk_fma_f16 v21, 0x3964, v22, v21 op_sel:[0,0,1] op_sel_hi:[0,1,0]
	v_pk_mul_f16 v22, 0xb8d2, v25 op_sel_hi:[0,1]
	v_fma_f16 v92, v2, 0xb461, -v77
	v_fmac_f16_e32 v77, 0xb461, v2
	v_pk_add_f16 v1, v17, v1
	v_pk_add_f16 v0, v21, v0
	v_pk_fma_f16 v17, 0xba62, v24, v22 op_sel:[0,0,1] op_sel_hi:[0,1,0] neg_lo:[0,1,0] neg_hi:[0,1,0]
	v_pk_fma_f16 v21, 0xba62, v24, v22 op_sel:[0,0,1] op_sel_hi:[0,1,0]
	v_pk_mul_f16 v22, 0x3722, v29 op_sel_hi:[0,1]
	v_add_f16_e32 v91, v92, v91
	v_pk_mul_f16 v2, 0x2de8, v2 op_sel_hi:[0,1]
	v_pk_add_f16 v1, v17, v1
	v_pk_add_f16 v0, v21, v0
	v_pk_fma_f16 v17, 0x3b29, v28, v22 op_sel:[0,0,1] op_sel_hi:[0,1,0] neg_lo:[0,1,0] neg_hi:[0,1,0]
	v_pk_fma_f16 v21, 0x3b29, v28, v22 op_sel:[0,0,1] op_sel_hi:[0,1,0]
	v_pk_mul_f16 v22, 0xb461, v31 op_sel_hi:[0,1]
	v_mul_f16_e32 v14, 0xb836, v93
	v_alignbit_b32 v13, v13, v12, 16
	v_pk_add_f16 v1, v17, v1
	v_pk_add_f16 v0, v21, v0
	v_pk_fma_f16 v17, 0xbbb2, v30, v22 op_sel:[0,0,1] op_sel_hi:[0,1,0] neg_lo:[0,1,0] neg_hi:[0,1,0]
	v_pk_fma_f16 v21, 0xbbb2, v30, v22 op_sel:[0,0,1] op_sel_hi:[0,1,0]
	v_pack_b32_f16 v8, v8, v12
	v_pk_fma_f16 v12, 0x3bf7, v93, v2 op_sel:[0,0,1] op_sel_hi:[0,1,0] neg_lo:[0,1,0] neg_hi:[0,1,0]
	v_pk_fma_f16 v2, 0x3bf7, v93, v2 op_sel:[0,0,1] op_sel_hi:[0,1,0]
	v_pk_add_f16 v1, v17, v1
	v_pk_add_f16 v0, v21, v0
	v_pack_b32_f16 v15, v91, v15
	v_fma_f16 v33, v98, 0x2de8, -v100
	v_pk_mul_f16 v20, 0x35c8b1e1, v93
	v_pk_add_f16 v1, v12, v1
	v_pk_add_f16 v0, v2, v0
	ds_store_2addr_b32 v75, v4, v15 offset1:7
	v_bfi_b32 v4, 0xffff, v14, v5
	v_pack_b32_f16 v17, v84, v85
	v_pack_b32_f16 v19, v19, v79
	;; [unrolled: 1-line block ×4, first 2 shown]
	v_alignbit_b32 v14, v1, v0, 16
	v_alignbit_b32 v0, v0, v1, 16
	v_pack_b32_f16 v1, v33, v35
	v_bfi_b32 v15, 0xffff, v81, v20
	v_pk_add_f16 v4, v18, v4 neg_lo:[0,1] neg_hi:[0,1]
	v_pk_add_f16 v5, v97, v5
	ds_store_2addr_b32 v75, v8, v13 offset0:1 offset1:2
	ds_store_2addr_b32 v75, v19, v17 offset0:3 offset1:4
	;; [unrolled: 1-line block ×4, first 2 shown]
	v_add_co_u32 v17, s2, 0xffffffef, v64
	v_pk_add_f16 v0, v1, v15
	v_bfi_b32 v1, 0xffff, v4, v5
	s_wait_alu 0xf1ff
	v_add_co_ci_u32_e64 v18, null, 0, -1, s2
	v_cndmask_b32_e32 v19, v17, v64, vcc_lo
	v_fma_f16 v89, v90, 0xb461, -v89
	v_pk_add_f16 v0, v1, v0
	s_delay_alu instid0(VALU_DEP_4)
	v_cndmask_b32_e64 v20, v18, 0, vcc_lo
	v_add_f16_e32 v23, v77, v36
	v_pack_b32_f16 v2, v83, v9
	v_add_f16_e32 v25, v89, v34
	v_alignbit_b32 v8, v80, v0, 16
	v_pack_b32_f16 v7, v7, v0
	v_lshlrev_b64_e32 v[0:1], 6, v[19:20]
	v_pack_b32_f16 v5, v86, v10
	v_pack_b32_f16 v4, v23, v25
	;; [unrolled: 1-line block ×4, first 2 shown]
	ds_store_2addr_b32 v75, v4, v2 offset0:10 offset1:11
	ds_store_2addr_b32 v75, v6, v5 offset0:12 offset1:13
	ds_store_2addr_b32 v75, v7, v8 offset0:14 offset1:15
	ds_store_b32 v75, v3 offset:64
	v_add_co_u32 v4, s2, s10, v0
	s_wait_alu 0xf1ff
	v_add_co_ci_u32_e64 v5, s2, s11, v1, s2
	global_wb scope:SCOPE_SE
	s_wait_dscnt 0x0
	s_barrier_signal -1
	s_barrier_wait -1
	global_inv scope:SCOPE_SE
	s_clause 0x3
	global_load_b128 v[12:15], v[4:5], off
	global_load_b128 v[8:11], v[4:5], off offset:16
	global_load_b128 v[0:3], v[4:5], off offset:32
	;; [unrolled: 1-line block ×3, first 2 shown]
	ds_load_2addr_b32 v[28:29], v40 offset0:68 offset1:102
	ds_load_2addr_b32 v[87:88], v40 offset0:136 offset1:170
	ds_load_2addr_b32 v[24:25], v40 offset0:204 offset1:238
	ds_load_2addr_b32 v[22:23], v26 offset0:16 offset1:50
	v_cmp_lt_u16_e64 s2, 16, v27
	ds_load_b32 v91, v40 offset:2176
	ds_load_2addr_b32 v[20:21], v26 offset0:84 offset1:118
	s_wait_alu 0xf1ff
	v_cndmask_b32_e64 v27, 0, 0x121, s2
	s_load_b64 s[2:3], s[0:1], 0x38
	s_wait_dscnt 0x5
	v_lshrrev_b32_e32 v30, 16, v28
	s_wait_dscnt 0x4
	v_lshrrev_b32_e32 v76, 16, v87
	v_lshrrev_b32_e32 v32, 16, v29
	s_wait_dscnt 0x3
	v_lshrrev_b32_e32 v86, 16, v24
	v_lshrrev_b32_e32 v89, 16, v88
	;; [unrolled: 1-line block ×3, first 2 shown]
	s_wait_dscnt 0x2
	v_lshrrev_b32_e32 v83, 16, v22
	v_lshrrev_b32_e32 v84, 16, v23
	s_wait_loadcnt 0x3
	v_lshrrev_b32_e32 v82, 16, v13
	v_lshrrev_b32_e32 v81, 16, v14
	;; [unrolled: 1-line block ×3, first 2 shown]
	s_wait_loadcnt 0x2
	v_lshrrev_b32_e32 v78, 16, v9
	v_lshrrev_b32_e32 v80, 16, v8
	v_mul_f16_e32 v31, v30, v82
	v_mul_f16_e32 v35, v28, v82
	;; [unrolled: 1-line block ×4, first 2 shown]
	v_lshrrev_b32_e32 v77, 16, v10
	v_fma_f16 v36, v28, v13, -v31
	v_mul_f16_e32 v28, v76, v79
	v_mul_f16_e32 v31, v87, v79
	v_fmac_f16_e32 v33, v32, v14
	v_fmac_f16_e32 v35, v30, v13
	v_mul_f16_e32 v30, v89, v80
	v_fma_f16 v32, v87, v15, -v28
	v_mul_f16_e32 v87, v86, v78
	v_fmac_f16_e32 v31, v76, v15
	v_mul_f16_e32 v28, v24, v78
	v_lshrrev_b32_e32 v76, 16, v11
	s_wait_loadcnt 0x1
	v_lshrrev_b32_e32 v93, 16, v0
	v_fma_f16 v24, v24, v9, -v87
	v_mul_f16_e32 v87, v85, v77
	v_fma_f16 v34, v29, v14, -v34
	v_mul_f16_e32 v29, v88, v80
	v_fma_f16 v30, v88, v8, -v30
	v_fmac_f16_e32 v28, v86, v9
	v_mul_f16_e32 v86, v83, v76
	v_fma_f16 v105, v25, v10, -v87
	v_mul_f16_e32 v106, v25, v77
	ds_load_2addr_b32 v[87:88], v26 offset0:152 offset1:186
	v_mul_f16_e32 v25, v84, v93
	v_fma_f16 v111, v22, v11, -v86
	v_add_nc_u32_e32 v86, v19, v27
	v_mul_f16_e32 v19, v22, v76
	v_mul_f16_e32 v114, v23, v93
	v_fma_f16 v27, v23, v0, -v25
	ds_load_2addr_b32 v[22:23], v26 offset0:220 offset1:254
	s_wait_loadcnt 0x0
	v_lshrrev_b32_e32 v95, 16, v4
	v_fmac_f16_e32 v19, v83, v11
	v_fmac_f16_e32 v114, v84, v0
	ds_load_2addr_b32 v[83:84], v40 offset1:34
	v_lshrrev_b32_e32 v100, 16, v5
	v_lshrrev_b32_e32 v98, 16, v6
	;; [unrolled: 1-line block ×4, first 2 shown]
	s_wait_dscnt 0x3
	v_lshrrev_b32_e32 v25, 16, v20
	v_fmac_f16_e32 v29, v89, v8
	v_fmac_f16_e32 v106, v85, v10
	v_lshrrev_b32_e32 v85, 16, v21
	s_wait_dscnt 0x2
	v_lshrrev_b32_e32 v90, 16, v88
	v_mul_f16_e32 v89, v25, v94
	v_mul_f16_e32 v117, v20, v94
	v_lshrrev_b32_e32 v96, 16, v2
	v_lshrrev_b32_e32 v97, 16, v3
	v_mul_f16_e32 v99, v90, v95
	v_fma_f16 v20, v20, v1, -v89
	s_wait_dscnt 0x1
	v_lshrrev_b32_e32 v101, 16, v22
	v_lshrrev_b32_e32 v102, 16, v23
	;; [unrolled: 1-line block ×3, first 2 shown]
	v_fma_f16 v103, v88, v4, -v99
	v_lshrrev_b32_e32 v99, 16, v7
	v_mul_f16_e32 v104, v101, v100
	v_mul_f16_e32 v107, v102, v98
	s_wait_dscnt 0x0
	v_mul_f16_e32 v110, v84, v109
	v_fmac_f16_e32 v117, v25, v1
	v_mul_f16_e32 v121, v91, v99
	v_fma_f16 v108, v22, v5, -v104
	v_fma_f16 v120, v23, v6, -v107
	v_lshrrev_b32_e32 v104, 16, v91
	v_lshrrev_b32_e32 v107, 16, v84
	v_mul_f16_e32 v22, v22, v100
	v_mul_f16_e32 v25, v85, v96
	;; [unrolled: 1-line block ×4, first 2 shown]
	v_fmac_f16_e32 v121, v104, v7
	v_fmac_f16_e32 v110, v107, v12
	v_lshrrev_b32_e32 v104, 16, v83
	v_mul_f16_e32 v113, v107, v109
	v_fmac_f16_e32 v22, v101, v5
	v_fma_f16 v25, v21, v2, -v25
	v_mul_f16_e32 v21, v21, v96
	v_add_f16_e32 v107, v104, v110
	v_fma_f16 v84, v84, v12, -v113
	v_fma_f16 v92, v87, v3, -v92
	v_mul_f16_e32 v87, v87, v97
	v_fma_f16 v127, v91, v7, -v112
	v_add_f16_e32 v107, v107, v35
	v_sub_f16_e32 v91, v110, v121
	v_mul_f16_e32 v88, v88, v95
	v_mul_f16_e32 v23, v23, v98
	v_fmac_f16_e32 v21, v85, v2
	v_add_f16_e32 v101, v107, v33
	v_add_f16_e32 v107, v83, v84
	v_fmac_f16_e32 v87, v89, v3
	v_add_f16_e32 v85, v84, v127
	v_mul_f16_e32 v89, 0xb5c8, v91
	v_add_f16_e32 v101, v101, v31
	v_add_f16_e32 v107, v107, v36
	v_fmac_f16_e32 v88, v90, v4
	v_fmac_f16_e32 v23, v102, v6
	v_fma_f16 v90, v85, 0x3b76, -v89
	v_add_f16_e32 v101, v101, v29
	v_add_f16_e32 v107, v107, v34
	v_mul_f16_e32 v102, 0xb964, v91
	v_mul_f16_e32 v112, 0xbb29, v91
	;; [unrolled: 1-line block ×3, first 2 shown]
	v_add_f16_e32 v101, v101, v28
	v_add_f16_e32 v107, v107, v32
	v_mul_f16_e32 v118, 0xbbb2, v91
	v_mul_f16_e32 v123, 0xba62, v91
	v_mul_f16_e64 v132, 0xb836, v91
	v_add_f16_e32 v101, v101, v106
	v_add_f16_e32 v107, v107, v30
	v_mul_f16_e64 v133, 0xb1e1, v91
	v_fmac_f16_e32 v89, 0x3b76, v85
	v_fma_f16 v113, v85, 0x39e9, -v102
	v_add_f16_e32 v101, v101, v19
	v_add_f16_e32 v107, v107, v24
	v_fmac_f16_e32 v102, 0x39e9, v85
	v_fma_f16 v115, v85, 0x3722, -v112
	v_fmac_f16_e32 v112, 0x3722, v85
	v_add_f16_e32 v101, v101, v114
	v_add_f16_e32 v107, v107, v105
	v_fma_f16 v119, v85, 0x2de8, -v116
	v_fmac_f16_e32 v116, 0x2de8, v85
	v_fma_f16 v122, v85, 0xb461, -v118
	v_fmac_f16_e32 v118, 0xb461, v85
	v_fma_f16 v91, v85, 0xb8d2, -v123
	v_fmac_f16_e32 v123, 0xb8d2, v85
	v_fma_f16 v126, v85, 0xbacd, -v132
	v_fmac_f16_e64 v132, 0xbacd, v85
	v_fma_f16 v134, v85, 0xbbdd, -v133
	v_add_f16_e32 v101, v101, v117
	v_fmac_f16_e64 v133, 0xbbdd, v85
	v_add_f16_e32 v85, v83, v90
	v_add_f16_e32 v90, v107, v111
	v_add_f16_e64 v129, v83, v89
	v_add_f16_e32 v89, v101, v21
	v_sub_f16_e64 v139, v84, v127
	v_add_f16_e64 v146, v83, v122
	v_add_f16_e32 v90, v90, v27
	v_add_f16_e64 v137, v110, v121
	v_add_f16_e32 v89, v89, v87
	v_sub_f16_e32 v122, v35, v23
	v_mul_f16_e64 v141, 0xb5c8, v139
	v_add_f16_e32 v90, v90, v20
	v_sub_f16_e64 v130, v36, v120
	v_add_f16_e32 v89, v89, v88
	v_add_f16_e64 v135, v83, v113
	v_add_f16_e64 v145, v83, v119
	v_add_f16_e32 v90, v90, v25
	v_add_f16_e32 v119, v83, v116
	;; [unrolled: 1-line block ×4, first 2 shown]
	v_add_f16_e64 v165, v83, v126
	v_add_f16_e32 v90, v90, v92
	v_add_f16_e32 v123, v36, v120
	v_add_f16_e64 v142, v89, v23
	v_mul_f16_e64 v136, 0xb964, v122
	v_add_f16_e32 v126, v35, v23
	v_add_f16_e32 v84, v90, v103
	v_fma_f16 v23, 0x3b76, v137, v141
	v_mul_f16_e64 v138, 0xb964, v130
	v_sub_f16_e32 v110, v33, v22
	v_sub_f16_e32 v113, v34, v108
	v_add_f16_e32 v124, v83, v102
	v_add_f16_e64 v143, v84, v108
	v_fma_f16 v35, v123, 0x39e9, -v136
	v_add_f16_e32 v23, v104, v23
	v_fma_f16 v36, 0x39e9, v126, v138
	v_add_f16_e32 v107, v34, v108
	v_mul_f16_e64 v128, 0xbb29, v110
	v_add_f16_e32 v108, v33, v22
	v_mul_f16_e64 v131, 0xbb29, v113
	v_sub_f16_e32 v102, v31, v88
	v_sub_f16_e32 v101, v32, v103
	v_add_f16_e64 v140, v83, v115
	v_add_f16_e32 v125, v83, v112
	v_add_f16_e64 v164, v83, v91
	v_add_f16_e32 v34, v35, v85
	v_add_f16_e32 v22, v36, v23
	v_fma_f16 v23, v107, 0x3722, -v128
	v_fma_f16 v33, 0x3722, v108, v131
	v_add_f16_e32 v90, v31, v88
	v_add_f16_e32 v91, v32, v103
	v_mul_f16_e32 v112, 0xbbf7, v102
	v_mul_f16_e32 v115, 0xbbf7, v101
	v_sub_f16_e32 v85, v29, v87
	v_sub_f16_e32 v88, v30, v92
	v_add_f16_e32 v23, v23, v34
	v_add_f16_e32 v22, v33, v22
	v_fma_f16 v31, v91, 0x2de8, -v112
	v_fmamk_f16 v32, v90, 0x2de8, v115
	v_add_f16_e32 v36, v30, v92
	v_mul_f16_e32 v92, 0xbbb2, v85
	v_add_f16_e32 v84, v29, v87
	v_mul_f16_e32 v103, 0xbbb2, v88
	v_sub_f16_e32 v34, v28, v21
	v_sub_f16_e32 v33, v24, v25
	v_add_f16_e32 v23, v31, v23
	v_add_f16_e32 v22, v32, v22
	v_fma_f16 v29, v36, 0xb461, -v92
	v_fmamk_f16 v32, v84, 0xb461, v103
	v_add_f16_e32 v30, v28, v21
	v_add_f16_e32 v31, v24, v25
	v_mul_f16_e32 v87, 0xba62, v34
	v_mul_f16_e32 v89, 0xba62, v33
	v_add_f16_e32 v21, v29, v23
	v_add_f16_e32 v22, v32, v22
	v_sub_f16_e32 v25, v106, v117
	v_fma_f16 v24, v31, 0xb8d2, -v87
	v_fmamk_f16 v29, v30, 0xb8d2, v89
	v_sub_f16_e32 v28, v105, v20
	v_add_f16_e32 v23, v105, v20
	v_mul_f16_e32 v32, 0xb836, v25
	v_add_f16_e32 v105, v24, v21
	v_add_f16_e32 v24, v106, v117
	v_mul_f16_e32 v35, 0xb836, v28
	v_add_f16_e32 v106, v29, v22
	v_sub_f16_e32 v22, v19, v114
	v_sub_f16_e32 v21, v111, v27
	v_fma_f16 v117, v23, 0xbacd, -v32
	v_fma_f16 v144, 0xbacd, v24, v35
	v_add_f16_e32 v19, v19, v114
	v_add_f16_e32 v20, v111, v27
	v_mul_f16_e32 v27, 0xb1e1, v22
	v_mul_f16_e32 v29, 0xb1e1, v21
	v_add_f16_e64 v111, v143, v120
	v_add_f16_e32 v105, v117, v105
	v_add_f16_e64 v106, v144, v106
	v_fma_f16 v114, v20, 0xbbdd, -v27
	v_fmamk_f16 v117, v19, 0xbbdd, v29
	v_mul_f16_e64 v166, 0xb964, v139
	v_add_f16_e32 v118, v83, v118
	v_add_f16_e64 v153, v83, v132
	v_add_f16_e64 v120, v142, v121
	v_add_f16_e32 v111, v111, v127
	v_add_f16_e32 v105, v114, v105
	;; [unrolled: 1-line block ×3, first 2 shown]
	v_add_f16_e64 v156, v83, v134
	v_add_f16_e64 v154, v83, v133
	v_fma_f16 v83, 0x39e9, v137, v166
	v_mul_f16_e64 v170, 0xbbf7, v130
	v_mul_f16_e64 v171, 0xbb29, v139
	v_pack_b32_f16 v167, v111, v120
	v_mul_f16_e64 v168, 0xbbf7, v122
	v_pack_b32_f16 v169, v105, v106
	v_add_f16_e32 v83, v104, v83
	v_fma_f16 v106, 0x2de8, v126, v170
	v_fma_f16 v111, 0x3722, v137, v171
	v_mul_f16_e64 v173, 0xba62, v130
	v_fma_f16 v105, v123, 0x2de8, -v168
	v_mul_f16_e64 v159, 0xba62, v110
	v_add_f16_e32 v83, v106, v83
	v_add_f16_e32 v106, v104, v111
	v_fma_f16 v111, 0xb8d2, v126, v173
	v_mul_f16_e64 v172, 0xba62, v122
	v_add_f16_e64 v105, v105, v135
	v_mul_f16_e64 v162, 0xba62, v113
	v_mul_f16_e64 v163, 0x31e1, v113
	v_add_f16_e32 v106, v111, v106
	v_fma_f16 v111, v107, 0xb8d2, -v159
	v_fma_f16 v114, v123, 0xb8d2, -v172
	v_mul_f16_e64 v161, 0x31e1, v110
	v_fma_f16 v117, 0xb8d2, v108, v162
	v_mul_f16_e64 v148, 0xb1e1, v102
	v_add_f16_e32 v105, v111, v105
	v_fma_f16 v111, 0xbbdd, v108, v163
	v_mul_f16_e64 v151, 0xb1e1, v101
	v_add_f16_e64 v114, v114, v140
	v_fma_f16 v120, v107, 0xbbdd, -v161
	v_add_f16_e32 v83, v117, v83
	v_fma_f16 v117, v91, 0xbbdd, -v148
	v_add_f16_e32 v106, v111, v106
	v_mul_f16_e64 v150, 0x3bb2, v102
	v_mul_f16_e64 v152, 0x3bb2, v101
	v_fma_f16 v111, 0xbbdd, v90, v151
	v_mul_f16_e64 v140, 0x3836, v85
	v_add_f16_e32 v114, v120, v114
	v_add_f16_e32 v105, v117, v105
	v_fma_f16 v117, v91, 0xb461, -v150
	v_fma_f16 v120, 0xb461, v90, v152
	v_mul_f16_e64 v143, 0x3836, v88
	v_add_f16_e32 v83, v111, v83
	v_fma_f16 v111, v36, 0xbacd, -v140
	v_mul_f16_e64 v142, 0x3964, v85
	v_mul_f16_e64 v132, 0x3bb2, v34
	v_add_f16_e32 v114, v117, v114
	v_add_f16_e32 v106, v120, v106
	v_fma_f16 v117, 0xbacd, v84, v143
	v_add_f16_e32 v105, v111, v105
	v_mul_f16_e64 v144, 0x3964, v88
	v_fma_f16 v111, v36, 0x39e9, -v142
	v_mul_f16_e64 v134, 0x3bb2, v33
	v_fma_f16 v120, v31, 0xb461, -v132
	v_mul_f16_e64 v133, 0xb5c8, v34
	v_add_f16_e32 v83, v117, v83
	v_fma_f16 v117, 0x39e9, v84, v144
	v_add_f16_e32 v111, v111, v114
	v_fma_f16 v114, 0xb461, v30, v134
	v_add_f16_e32 v105, v120, v105
	v_fma_f16 v120, v31, 0x3b76, -v133
	v_mul_f16_e64 v135, 0xb5c8, v33
	v_add_f16_e32 v106, v117, v106
	v_add_f16_e32 v83, v114, v83
	v_mul_f16_e32 v117, 0x3b29, v25
	v_add_f16_e32 v111, v120, v111
	v_fma_f16 v114, 0x3b76, v30, v135
	v_mul_f16_e32 v120, 0xbbf7, v25
	v_mul_f16_e32 v121, 0x3b29, v28
	v_fma_f16 v147, v23, 0x3722, -v117
	v_mul_f16_e32 v127, 0xbbf7, v28
	v_add_f16_e32 v114, v114, v106
	v_fma_f16 v106, v23, 0x2de8, -v120
	v_fma_f16 v149, 0x3722, v24, v121
	v_add_f16_e64 v147, v147, v105
	v_mul_f16_e32 v105, 0x35c8, v22
	v_mul_f16_e64 v174, 0xb1e1, v122
	v_add_f16_e64 v155, v106, v111
	v_mul_f16_e32 v111, 0x35c8, v21
	v_mul_f16_e32 v106, 0xb836, v22
	v_add_f16_e64 v83, v149, v83
	v_fma_f16 v149, 0x2de8, v24, v127
	v_fma_f16 v157, v20, 0x3b76, -v105
	v_fma_f16 v158, 0x3b76, v19, v111
	v_fma_f16 v160, v20, 0xbacd, -v106
	v_mul_f16_e64 v176, 0xbbf7, v139
	v_add_f16_e64 v149, v149, v114
	v_mul_f16_e32 v114, 0xb836, v21
	v_add_f16_e64 v147, v157, v147
	v_add_f16_e64 v83, v158, v83
	;; [unrolled: 1-line block ×3, first 2 shown]
	v_fma_f16 v155, v123, 0xbbdd, -v174
	v_fma_f16 v157, 0xbacd, v19, v114
	v_mul_f16_e64 v179, 0xbbb2, v139
	v_pack_b32_f16 v178, v147, v83
	v_mul_f16_e64 v180, 0xb1e1, v130
	v_add_f16_e64 v83, v155, v145
	v_fma_f16 v145, 0x2de8, v137, v176
	v_mul_f16_e64 v181, 0x3836, v122
	v_add_f16_e64 v177, v157, v149
	v_fma_f16 v147, 0xb461, v137, v179
	;; [unrolled: 3-line block ×3, first 2 shown]
	v_fma_f16 v155, v123, 0xbacd, -v181
	v_mul_f16_e64 v183, 0x3bb2, v110
	v_mul_f16_e64 v184, 0x3bb2, v113
	v_add_f16_e64 v147, v104, v147
	v_fma_f16 v157, 0xbacd, v126, v182
	v_add_f16_e64 v145, v149, v145
	v_add_f16_e64 v146, v155, v146
	v_fma_f16 v149, v107, 0xb461, -v183
	v_fma_f16 v155, 0xb461, v108, v184
	v_mul_f16_e64 v185, 0x3964, v110
	v_mul_f16_e64 v186, 0x3964, v113
	v_add_f16_e64 v147, v157, v147
	v_mul_f16_e64 v187, 0x35c8, v102
	v_add_f16_e64 v83, v149, v83
	v_add_f16_e64 v145, v155, v145
	v_fma_f16 v149, v107, 0x39e9, -v185
	v_fma_f16 v155, 0x39e9, v108, v186
	v_mul_f16_e64 v188, 0x35c8, v101
	v_mul_f16_e64 v189, 0xbb29, v102
	v_fma_f16 v157, v91, 0x3b76, -v187
	v_add_f16_e64 v146, v149, v146
	v_add_f16_e64 v147, v155, v147
	v_fma_f16 v149, 0x3b76, v90, v188
	v_fma_f16 v155, v91, 0x3722, -v189
	v_mul_f16_e64 v190, 0xbb29, v101
	v_mul_f16_e64 v191, 0xbb29, v85
	v_add_f16_e64 v83, v157, v83
	v_mul_f16_e64 v192, 0xbb29, v88
	v_add_f16_e64 v145, v149, v145
	v_add_f16_e64 v146, v155, v146
	v_fma_f16 v149, 0x3722, v90, v190
	v_fma_f16 v155, v36, 0x3722, -v191
	v_mul_f16_e64 v193, 0xb1e1, v85
	v_mul_f16_e64 v194, 0xb1e1, v88
	v_fma_f16 v157, 0x3722, v84, v192
	v_add_f16_e64 v147, v149, v147
	v_add_f16_e64 v83, v155, v83
	v_fma_f16 v149, v36, 0xbbdd, -v193
	v_fma_f16 v155, 0xbbdd, v84, v194
	v_mul_f16_e64 v195, 0xb836, v34
	v_mul_f16_e64 v196, 0xb836, v33
	;; [unrolled: 1-line block ×3, first 2 shown]
	v_add_f16_e64 v145, v157, v145
	v_add_f16_e64 v146, v149, v146
	v_add_f16_e64 v147, v155, v147
	v_fma_f16 v149, v31, 0xbacd, -v195
	v_fma_f16 v157, 0xbacd, v30, v196
	v_fma_f16 v158, v31, 0x2de8, -v197
	v_mul_f16_e64 v198, 0x3bf7, v33
	v_mul_f16_e64 v155, 0x3a62, v25
	v_add_f16_e64 v83, v149, v83
	v_add_f16_e64 v149, v157, v145
	;; [unrolled: 1-line block ×3, first 2 shown]
	v_fma_f16 v145, 0x2de8, v30, v198
	v_fma_f16 v199, v23, 0xb8d2, -v155
	v_mul_f16_e64 v158, 0x3a62, v28
	v_mul_f16_e64 v157, 0xb5c8, v25
	;; [unrolled: 1-line block ×3, first 2 shown]
	v_add_f16_e64 v200, v145, v147
	v_add_f16_e64 v83, v199, v83
	v_fma_f16 v199, 0xb8d2, v24, v158
	v_fma_f16 v201, v23, 0x3b76, -v157
	v_fma_f16 v202, 0x3b76, v24, v160
	v_mul_f16_e64 v145, 0x3964, v22
	v_mul_f16_e64 v147, 0x3964, v21
	v_add_f16_e64 v199, v199, v149
	v_add_f16_e64 v201, v201, v146
	v_mul_f16_e64 v146, 0xba62, v22
	v_fma_f16 v203, v20, 0x39e9, -v145
	v_add_f16_e64 v200, v202, v200
	v_mul_f16_e64 v149, 0xba62, v21
	v_fma_f16 v202, 0x39e9, v19, v147
	v_fma_f16 v204, v20, 0xb8d2, -v146
	v_add_f16_e64 v203, v203, v83
	v_mul_f16_e64 v205, 0xba62, v139
	v_fma_f16 v83, 0xb8d2, v19, v149
	v_add_f16_e64 v199, v202, v199
	v_mul_f16_e64 v202, 0x3bb2, v122
	v_mul_f16_e64 v206, 0xb836, v139
	v_add_f16_e64 v201, v204, v201
	v_fma_f16 v204, 0xb8d2, v137, v205
	v_add_f16_e64 v200, v83, v200
	v_mul_f16_e64 v207, 0x3bb2, v130
	v_fma_f16 v83, v123, 0xb461, -v202
	v_mul_f16_e64 v208, 0x3b29, v122
	v_fma_f16 v209, 0xbacd, v137, v206
	v_mul_f16_e64 v210, 0x3b29, v130
	v_add_f16_e64 v204, v104, v204
	v_fma_f16 v211, 0xb461, v126, v207
	v_add_f16_e64 v83, v83, v164
	v_fma_f16 v164, v123, 0x3722, -v208
	v_add_f16_e64 v209, v104, v209
	v_fma_f16 v212, 0x3722, v126, v210
	v_mul_f16_e64 v213, 0xb5c8, v110
	v_mul_f16_e64 v214, 0xb5c8, v113
	v_add_f16_e64 v204, v211, v204
	v_add_f16_e64 v164, v164, v165
	;; [unrolled: 1-line block ×3, first 2 shown]
	v_fma_f16 v209, v107, 0x3b76, -v213
	v_fma_f16 v211, 0x3b76, v108, v214
	v_mul_f16_e64 v212, 0xbbf7, v110
	v_mul_f16_e64 v215, 0xbbf7, v113
	;; [unrolled: 1-line block ×3, first 2 shown]
	v_add_f16_e64 v83, v209, v83
	v_add_f16_e64 v204, v211, v204
	v_fma_f16 v209, v107, 0x2de8, -v212
	v_fma_f16 v211, 0x2de8, v108, v215
	v_fma_f16 v217, v91, 0xbacd, -v216
	v_mul_f16_e64 v218, 0xb836, v101
	v_mul_f16_e64 v219, 0x3a62, v102
	v_add_f16_e64 v164, v209, v164
	v_add_f16_e64 v165, v211, v165
	;; [unrolled: 1-line block ×3, first 2 shown]
	v_fma_f16 v209, 0xbacd, v90, v218
	v_fma_f16 v211, v91, 0xb8d2, -v219
	v_mul_f16_e64 v217, 0x3a62, v101
	v_mul_f16_e64 v220, 0x3bf7, v85
	;; [unrolled: 1-line block ×3, first 2 shown]
	v_add_f16_e64 v204, v209, v204
	v_add_f16_e64 v164, v211, v164
	v_fma_f16 v209, 0xb8d2, v90, v217
	v_fma_f16 v211, v36, 0x2de8, -v220
	v_fma_f16 v222, 0x2de8, v84, v221
	v_mul_f16_e64 v223, 0xb5c8, v85
	v_mul_f16_e64 v224, 0xb5c8, v88
	v_add_f16_e64 v165, v209, v165
	v_add_f16_e64 v83, v211, v83
	;; [unrolled: 1-line block ×3, first 2 shown]
	v_fma_f16 v209, v36, 0x3b76, -v223
	v_fma_f16 v211, 0x3b76, v84, v224
	v_mul_f16_e64 v222, 0xb964, v34
	v_mul_f16_e64 v225, 0xb964, v33
	;; [unrolled: 1-line block ×3, first 2 shown]
	v_add_f16_e64 v164, v209, v164
	v_add_f16_e64 v165, v211, v165
	v_fma_f16 v209, v31, 0x39e9, -v222
	v_fma_f16 v211, 0x39e9, v30, v225
	v_fma_f16 v227, v31, 0xbbdd, -v226
	v_mul_f16_e64 v228, 0xb1e1, v33
	v_mul_f16_e64 v229, 0xb1e1, v25
	v_add_f16_e64 v83, v209, v83
	v_add_f16_e64 v204, v211, v204
	;; [unrolled: 1-line block ×3, first 2 shown]
	v_fma_f16 v209, 0xbbdd, v30, v228
	v_fma_f16 v211, v23, 0xbbdd, -v229
	v_mul_f16_e64 v227, 0xb1e1, v28
	v_mul_f16_e64 v230, 0x3964, v25
	;; [unrolled: 1-line block ×3, first 2 shown]
	v_add_f16_e64 v165, v209, v165
	v_add_f16_e64 v83, v211, v83
	v_fma_f16 v209, 0xbbdd, v24, v227
	v_fma_f16 v211, v23, 0x39e9, -v230
	v_mul_f16_e64 v234, 0x3b29, v21
	v_fma_f16 v232, 0x39e9, v24, v231
	v_mul_f16_e64 v233, 0x3b29, v22
	v_add_f16_e64 v204, v209, v204
	v_add_f16_e64 v164, v211, v164
	v_fma_f16 v211, 0x3722, v19, v234
	v_add_f16_e64 v165, v232, v165
	v_fma_f16 v209, v20, 0x3722, -v233
	v_mul_f16_e64 v232, 0xbbb2, v22
	global_wb scope:SCOPE_SE
	v_add_f16_e64 v204, v211, v204
	v_mul_f16_e64 v211, 0xbbb2, v21
	v_add_f16_e64 v209, v209, v83
	v_fma_f16 v83, v20, 0xb461, -v232
	s_wait_kmcnt 0x0
	s_barrier_signal -1
	s_barrier_wait -1
	v_fma_f16 v235, 0xb461, v19, v211
	global_inv scope:SCOPE_SE
	v_add_f16_e64 v164, v83, v164
	v_lshl_add_u32 v83, v86, 2, v74
	v_mul_f16_e64 v139, 0xb1e1, v139
	v_add_f16_e64 v86, v235, v165
	v_pack_b32_f16 v165, v175, v177
	v_pack_b32_f16 v175, v203, v199
	;; [unrolled: 1-line block ×5, first 2 shown]
	ds_store_2addr_b32 v83, v167, v169 offset1:17
	ds_store_2addr_b32 v83, v178, v165 offset0:34 offset1:51
	ds_store_2addr_b32 v83, v175, v177 offset0:68 offset1:85
	;; [unrolled: 1-line block ×3, first 2 shown]
	v_fma_f16 v86, v137, 0x3b76, -v141
	v_fma_f16 v141, v137, 0x39e9, -v166
	v_fmac_f16_e64 v136, 0x39e9, v123
	v_fma_f16 v164, v137, 0x3722, -v171
	v_fma_f16 v165, v137, 0x2de8, -v176
	;; [unrolled: 1-line block ×5, first 2 shown]
	v_fma_f16 v171, 0xbbdd, v137, v139
	v_fma_f16 v137, v137, 0xbbdd, -v139
	v_add_f16_e64 v139, v104, v141
	v_add_f16_e64 v129, v136, v129
	v_fma_f16 v136, v126, 0x2de8, -v170
	v_add_f16_e64 v141, v104, v164
	v_add_f16_e64 v164, v104, v165
	;; [unrolled: 1-line block ×3, first 2 shown]
	v_mul_f16_e32 v122, 0x35c8, v122
	v_add_f16_e64 v136, v136, v139
	v_fma_f16 v139, v126, 0xbacd, -v182
	v_mul_f16_e64 v130, 0x35c8, v130
	v_add_f16_e32 v86, v104, v86
	v_add_f16_e64 v166, v104, v167
	v_add_f16_e64 v167, v104, v169
	;; [unrolled: 1-line block ×4, first 2 shown]
	v_fma_f16 v137, v126, 0x39e9, -v138
	v_fmac_f16_e64 v168, 0x2de8, v123
	v_fmac_f16_e64 v172, 0xb8d2, v123
	;; [unrolled: 1-line block ×5, first 2 shown]
	v_add_f16_e64 v139, v139, v165
	v_fmac_f16_e64 v208, 0x3722, v123
	v_fma_f16 v165, v123, 0x3b76, -v122
	v_fmac_f16_e32 v122, 0x3b76, v123
	v_fma_f16 v123, v126, 0x3b76, -v130
	v_add_f16_e64 v86, v137, v86
	v_add_f16_e64 v124, v168, v124
	v_fma_f16 v137, v126, 0xb8d2, -v173
	v_fmac_f16_e64 v159, 0xb8d2, v107
	v_add_f16_e32 v104, v123, v104
	v_fma_f16 v123, v108, 0x3722, -v131
	v_mul_f16_e32 v110, 0xb836, v110
	v_add_f16_e64 v137, v137, v141
	v_fma_f16 v141, v126, 0xb461, -v207
	v_mul_f16_e32 v113, 0xb836, v113
	v_add_f16_e32 v86, v123, v86
	v_add_f16_e64 v123, v159, v124
	v_fma_f16 v124, v108, 0xbbdd, -v163
	v_add_f16_e64 v141, v141, v166
	v_add_f16_e64 v125, v172, v125
	v_fma_f16 v138, v126, 0xbbdd, -v180
	v_fmac_f16_e64 v128, 0x3722, v107
	v_add_f16_e64 v124, v124, v137
	v_fma_f16 v137, v108, 0x3b76, -v214
	v_fmac_f16_e64 v161, 0xbbdd, v107
	v_fmac_f16_e64 v183, 0xb461, v107
	;; [unrolled: 1-line block ×5, first 2 shown]
	v_add_f16_e64 v137, v137, v141
	v_fma_f16 v141, v107, 0xbacd, -v110
	v_fmac_f16_e32 v110, 0xbacd, v107
	v_fma_f16 v107, v108, 0xbacd, -v113
	v_add_f16_e64 v138, v138, v164
	v_add_f16_e64 v122, v122, v154
	;; [unrolled: 1-line block ×3, first 2 shown]
	v_fma_f16 v129, v108, 0xb8d2, -v162
	v_add_f16_e64 v125, v161, v125
	v_fma_f16 v131, v108, 0xb461, -v184
	v_add_f16_e32 v104, v107, v104
	v_fma_f16 v107, v90, 0x2de8, -v115
	v_fmac_f16_e64 v148, 0xbbdd, v91
	v_fmac_f16_e64 v150, 0xb461, v91
	v_add_f16_e64 v153, v208, v153
	v_fma_f16 v166, 0x3b76, v126, v130
	v_add_f16_e64 v130, v165, v156
	v_add_f16_e64 v129, v129, v136
	v_fma_f16 v136, v108, 0x39e9, -v186
	v_add_f16_e64 v131, v131, v138
	v_add_f16_e32 v110, v110, v122
	v_add_f16_e32 v86, v107, v86
	v_add_f16_e64 v107, v148, v123
	v_fma_f16 v122, v90, 0xb461, -v152
	v_add_f16_e64 v123, v150, v125
	v_fma_f16 v125, v90, 0x3b76, -v188
	v_mul_f16_e32 v102, 0x3964, v102
	v_add_f16_e64 v116, v202, v116
	v_fma_f16 v164, v126, 0x3722, -v210
	v_fmac_f16_e32 v112, 0x2de8, v91
	v_add_f16_e64 v119, v174, v119
	v_add_f16_e64 v136, v136, v139
	;; [unrolled: 1-line block ×3, first 2 shown]
	v_fma_f16 v153, 0xbacd, v108, v113
	v_add_f16_e64 v113, v141, v130
	v_add_f16_e32 v122, v122, v124
	v_fma_f16 v124, v90, 0x3722, -v190
	v_add_f16_e64 v125, v125, v131
	v_mul_f16_e32 v101, 0x3964, v101
	v_fma_f16 v131, v91, 0x39e9, -v102
	v_add_f16_e64 v126, v164, v167
	v_add_f16_e64 v156, v166, v169
	;; [unrolled: 1-line block ×3, first 2 shown]
	v_fma_f16 v139, v108, 0x2de8, -v215
	v_add_f16_e64 v112, v112, v128
	v_fmac_f16_e64 v216, 0xbacd, v91
	v_fmac_f16_e32 v92, 0xb461, v36
	v_fma_f16 v103, v84, 0xb461, -v103
	v_fmac_f16_e64 v140, 0xbacd, v36
	v_add_f16_e64 v118, v181, v118
	v_add_f16_e64 v119, v183, v119
	v_fma_f16 v115, v90, 0xbbdd, -v151
	v_fmac_f16_e64 v187, 0x3b76, v91
	v_add_f16_e64 v124, v124, v136
	v_fma_f16 v128, v90, 0xbacd, -v218
	v_fma_f16 v130, v90, 0xb8d2, -v217
	v_fma_f16 v136, 0x39e9, v90, v101
	v_fma_f16 v90, v90, 0x39e9, -v101
	v_add_f16_e64 v101, v131, v113
	v_fma_f16 v113, v84, 0xbbdd, -v194
	v_mul_f16_e32 v85, 0xba62, v85
	v_mul_f16_e32 v88, 0xba62, v88
	v_add_f16_e64 v108, v139, v126
	v_add_f16_e64 v126, v153, v156
	v_add_f16_e64 v116, v216, v116
	v_fmac_f16_e32 v102, 0x39e9, v91
	v_add_f16_e32 v92, v92, v112
	v_fmac_f16_e64 v142, 0x39e9, v36
	v_add_f16_e32 v86, v103, v86
	v_add_f16_e64 v103, v140, v107
	v_fma_f16 v112, v84, 0x3722, -v192
	v_fmac_f16_e64 v220, 0x2de8, v36
	v_fma_f16 v89, v30, 0xb8d2, -v89
	v_fmac_f16_e64 v132, 0xb461, v31
	v_add_f16_e64 v118, v185, v118
	v_add_f16_e64 v115, v115, v129
	v_fmac_f16_e64 v189, 0x3722, v91
	v_add_f16_e64 v119, v187, v119
	v_add_f16_e32 v90, v90, v104
	v_fma_f16 v104, v84, 0xbacd, -v143
	v_fmac_f16_e64 v191, 0x3722, v36
	v_fmac_f16_e64 v193, 0xbbdd, v36
	v_add_f16_e32 v113, v113, v124
	v_fmac_f16_e64 v223, 0x3b76, v36
	v_fma_f16 v124, v36, 0xb8d2, -v85
	v_fmac_f16_e32 v85, 0xb8d2, v36
	v_fma_f16 v36, v84, 0xb8d2, -v88
	v_fmac_f16_e64 v219, 0xb8d2, v91
	v_add_f16_e64 v91, v130, v108
	v_add_f16_e64 v108, v136, v126
	v_add_f16_e32 v102, v102, v110
	v_add_f16_e64 v110, v142, v123
	v_add_f16_e32 v112, v112, v125
	v_add_f16_e64 v116, v220, v116
	v_fma_f16 v123, v84, 0x3b76, -v224
	v_fmamk_f16 v125, v84, 0xb8d2, v88
	v_fmac_f16_e32 v87, 0xb8d2, v31
	v_fmac_f16_e64 v133, 0x3b76, v31
	v_add_f16_e32 v86, v89, v86
	v_add_f16_e64 v89, v132, v103
	v_fma_f16 v103, v30, 0x2de8, -v198
	v_fmac_f16_e64 v222, 0x39e9, v31
	v_mul_f16_e32 v33, 0x3b29, v33
	v_add_f16_e64 v118, v189, v118
	v_fma_f16 v107, v84, 0x39e9, -v144
	v_add_f16_e32 v104, v104, v115
	v_add_f16_e64 v115, v191, v119
	v_add_f16_e32 v36, v36, v90
	v_fma_f16 v90, v30, 0xb461, -v134
	v_fmac_f16_e64 v195, 0xbacd, v31
	v_mul_f16_e32 v34, 0x3b29, v34
	v_fma_f16 v119, v84, 0x2de8, -v221
	v_add_f16_e32 v84, v123, v91
	v_add_f16_e32 v88, v124, v101
	v_add_f16_e32 v91, v125, v108
	v_add_f16_e32 v85, v85, v102
	v_add_f16_e32 v87, v87, v92
	v_fma_f16 v92, v30, 0x3b76, -v135
	v_add_f16_e64 v101, v133, v110
	v_fma_f16 v102, v30, 0xbacd, -v196
	v_add_f16_e32 v103, v103, v113
	v_fma_f16 v108, v30, 0x39e9, -v225
	v_add_f16_e64 v110, v222, v116
	v_fma_f16 v113, v30, 0xbbdd, -v228
	v_fmamk_f16 v116, v30, 0x3722, v33
	v_fma_f16 v30, v30, 0x3722, -v33
	v_add_f16_e64 v129, v219, v138
	v_add_f16_e32 v107, v107, v122
	v_add_f16_e64 v118, v193, v118
	v_add_f16_e32 v90, v90, v104
	v_fmac_f16_e64 v197, 0x2de8, v31
	v_add_f16_e64 v104, v195, v115
	v_fma_f16 v115, v31, 0x3722, -v34
	v_fmac_f16_e32 v34, 0x3722, v31
	v_fmac_f16_e32 v117, 0x3722, v23
	v_add_f16_e64 v128, v128, v137
	v_add_f16_e32 v30, v30, v36
	v_fma_f16 v35, v24, 0xbacd, -v35
	v_fma_f16 v36, v24, 0x3722, -v121
	v_fmac_f16_e64 v155, 0xb8d2, v23
	v_mul_f16_e32 v25, 0xbbb2, v25
	v_mul_f16_e32 v28, 0xbbb2, v28
	v_add_f16_e64 v122, v223, v129
	v_add_f16_e32 v92, v92, v107
	v_add_f16_e64 v107, v197, v118
	v_fmac_f16_e64 v226, 0xbbdd, v31
	v_fmac_f16_e32 v32, 0xbacd, v23
	v_add_f16_e32 v34, v34, v85
	v_add_f16_e32 v85, v117, v89
	v_fmac_f16_e64 v157, 0x3b76, v23
	v_fma_f16 v89, v24, 0x3b76, -v160
	v_add_f16_e64 v119, v119, v128
	v_fmac_f16_e32 v120, 0x2de8, v23
	v_add_f16_e32 v35, v35, v86
	v_fma_f16 v86, v24, 0x2de8, -v127
	v_add_f16_e32 v36, v36, v90
	v_add_f16_e64 v90, v155, v104
	v_fmac_f16_e64 v229, 0xbbdd, v23
	v_fmac_f16_e64 v230, 0x39e9, v23
	v_fma_f16 v104, v23, 0xb461, -v25
	v_fmac_f16_e32 v25, 0xb461, v23
	v_fma_f16 v23, v24, 0xb461, -v28
	v_add_f16_e32 v102, v102, v112
	v_add_f16_e64 v112, v226, v122
	v_add_f16_e32 v31, v113, v84
	v_add_f16_e32 v33, v115, v88
	;; [unrolled: 1-line block ×4, first 2 shown]
	v_fma_f16 v88, v24, 0xb8d2, -v158
	v_add_f16_e64 v91, v157, v107
	v_add_f16_e32 v89, v89, v103
	v_fma_f16 v103, v24, 0x39e9, -v231
	v_fmamk_f16 v107, v24, 0xb461, v28
	v_fmac_f16_e32 v27, 0xbbdd, v20
	v_fma_f16 v29, v19, 0xbbdd, -v29
	v_fmac_f16_e32 v105, 0x3b76, v20
	v_mul_f16_e32 v22, 0x3bf7, v22
	v_mul_f16_e32 v21, 0x3bf7, v21
	v_add_f16_e32 v108, v108, v119
	v_add_f16_e32 v86, v86, v92
	v_fma_f16 v92, v24, 0xbbdd, -v227
	v_add_f16_e32 v23, v23, v30
	v_fma_f16 v30, v19, 0xbacd, -v114
	v_add_f16_e32 v88, v88, v102
	v_add_f16_e64 v102, v230, v112
	v_add_f16_e32 v24, v103, v31
	v_add_f16_e32 v28, v104, v33
	;; [unrolled: 1-line block ×5, first 2 shown]
	v_fma_f16 v27, v19, 0x3b76, -v111
	v_add_f16_e32 v111, v29, v35
	v_fmac_f16_e32 v106, 0xbacd, v20
	v_add_f16_e32 v29, v105, v85
	v_fmac_f16_e64 v145, 0x39e9, v20
	v_fmac_f16_e64 v146, 0xb8d2, v20
	;; [unrolled: 1-line block ×4, first 2 shown]
	v_fma_f16 v85, v20, 0x2de8, -v22
	v_fmac_f16_e32 v22, 0x2de8, v20
	v_fmamk_f16 v20, v19, 0x2de8, v21
	v_fma_f16 v21, v19, 0x2de8, -v21
	v_add_f16_e32 v87, v120, v101
	v_add_f16_e64 v101, v229, v110
	v_add_f16_e32 v92, v92, v108
	v_fma_f16 v33, v19, 0x39e9, -v147
	v_add_f16_e32 v30, v30, v86
	v_fma_f16 v35, v19, 0xb8d2, -v149
	v_fma_f16 v86, v19, 0x3722, -v234
	;; [unrolled: 1-line block ×3, first 2 shown]
	v_add_f16_e32 v28, v85, v28
	v_add_f16_e32 v20, v20, v31
	;; [unrolled: 1-line block ×4, first 2 shown]
	v_add_f16_e64 v84, v232, v102
	v_add_f16_e32 v19, v19, v24
	v_add_f16_e64 v23, v233, v101
	v_add_f16_e32 v24, v86, v92
	v_add_f16_e32 v27, v27, v36
	v_add_f16_e64 v34, v145, v90
	v_add_f16_e32 v33, v33, v88
	v_add_f16_e64 v36, v146, v91
	v_add_f16_e32 v35, v35, v89
	v_add_f16_e32 v32, v106, v87
	v_pack_b32_f16 v20, v28, v20
	v_pack_b32_f16 v21, v22, v21
	;; [unrolled: 1-line block ×9, first 2 shown]
	v_add_nc_u32_e32 v113, 0x600, v40
	ds_store_2addr_b32 v83, v20, v21 offset0:136 offset1:153
	ds_store_2addr_b32 v83, v19, v22 offset0:170 offset1:187
	;; [unrolled: 1-line block ×4, first 2 shown]
	ds_store_b32 v83, v28 offset:1088
	global_wb scope:SCOPE_SE
	s_wait_dscnt 0x0
	s_barrier_signal -1
	s_barrier_wait -1
	global_inv scope:SCOPE_SE
	ds_load_2addr_b32 v[23:24], v40 offset1:34
	ds_load_2addr_b32 v[29:30], v26 offset0:33 offset1:67
	ds_load_2addr_b32 v[21:22], v40 offset0:68 offset1:102
	;; [unrolled: 1-line block ×7, first 2 shown]
	v_add_co_u32 v19, s0, s8, v73
	s_wait_alu 0xf1ff
	v_add_co_ci_u32_e64 v20, null, s9, 0, s0
                                        ; implicit-def: $vgpr114
                                        ; implicit-def: $vgpr115
	s_and_saveexec_b32 s0, vcc_lo
	s_cbranch_execz .LBB0_3
; %bb.2:
	ds_load_b32 v112, v40 offset:1088
	ds_load_b32 v114, v40 offset:2244
	v_add_co_u32 v17, s1, 0x110, v64
	s_wait_alu 0xf1ff
	v_add_co_ci_u32_e64 v18, null, 0, 0, s1
	s_wait_dscnt 0x1
	v_lshrrev_b32_e32 v111, 16, v112
	s_wait_dscnt 0x0
	v_lshrrev_b32_e32 v115, 16, v114
.LBB0_3:
	s_wait_alu 0xfffe
	s_or_b32 exec_lo, exec_lo, s0
	v_lshlrev_b64_e32 v[17:18], 2, v[17:18]
	v_lshlrev_b32_e32 v110, 2, v64
	s_wait_dscnt 0x6
	v_lshrrev_b32_e32 v117, 16, v30
	s_wait_dscnt 0x4
	v_lshrrev_b32_e32 v119, 16, v33
	v_lshrrev_b32_e32 v121, 16, v34
	s_clause 0x7
	global_load_b32 v89, v110, s[10:11] offset:1088
	global_load_b32 v84, v110, s[10:11] offset:1224
	;; [unrolled: 1-line block ×8, first 2 shown]
	v_add_co_u32 v17, s0, s10, v17
	s_wait_alu 0xf1ff
	v_add_co_ci_u32_e64 v18, s0, s11, v18, s0
	s_wait_dscnt 0x3
	v_lshrrev_b32_e32 v123, 16, v31
	v_lshrrev_b32_e32 v125, 16, v32
	s_wait_dscnt 0x0
	v_lshrrev_b32_e32 v127, 16, v35
	global_load_b32 v73, v[17:18], off offset:1088
	v_lshrrev_b32_e32 v18, 16, v29
	v_lshrrev_b32_e32 v129, 16, v36
	;; [unrolled: 1-line block ×10, first 2 shown]
	v_lshl_add_u32 v74, v64, 2, v74
	s_wait_loadcnt 0x8
	v_lshrrev_b32_e32 v108, 16, v89
	s_wait_loadcnt 0x7
	v_lshrrev_b32_e32 v107, 16, v84
	;; [unrolled: 2-line block ×8, first 2 shown]
	v_mul_f16_e64 v130, v18, v108
	v_mul_f16_e64 v131, v29, v108
	;; [unrolled: 1-line block ×16, first 2 shown]
	s_wait_loadcnt 0x0
	v_lshrrev_b32_e32 v88, 16, v73
	v_fma_f16 v29, v29, v89, -v130
	v_fmac_f16_e64 v131, v18, v89
	v_fma_f16 v18, v30, v84, -v132
	v_fmac_f16_e64 v133, v117, v84
	v_fma_f16 v30, v33, v90, -v134
	v_fmac_f16_e64 v135, v119, v90
	v_fma_f16 v33, v34, v85, -v136
	v_fmac_f16_e64 v137, v121, v85
	v_fma_f16 v31, v31, v87, -v138
	v_fmac_f16_e64 v139, v123, v87
	v_fma_f16 v32, v32, v91, -v140
	v_fmac_f16_e64 v141, v125, v91
	v_fma_f16 v34, v35, v86, -v142
	v_fmac_f16_e64 v143, v127, v86
	v_fma_f16 v35, v36, v92, -v144
	v_fmac_f16_e64 v145, v129, v92
	v_mul_f16_e32 v36, v115, v88
	v_mul_f16_e32 v117, v114, v88
	v_sub_f16_e32 v29, v23, v29
	v_sub_f16_e64 v119, v17, v131
	v_sub_f16_e32 v18, v24, v18
	v_sub_f16_e64 v121, v116, v133
	;; [unrolled: 2-line block ×8, first 2 shown]
	v_fma_f16 v36, v114, v73, -v36
	v_fmac_f16_e32 v117, v115, v73
	v_fma_f16 v23, v23, 2.0, -v29
	v_fma_f16 v17, v17, 2.0, -v119
	;; [unrolled: 1-line block ×16, first 2 shown]
	v_pack_b32_f16 v29, v29, v119
	v_pack_b32_f16 v18, v18, v121
	;; [unrolled: 1-line block ×4, first 2 shown]
	v_sub_f16_e32 v31, v112, v36
	v_sub_f16_e32 v32, v111, v117
	v_pack_b32_f16 v17, v23, v17
	v_pack_b32_f16 v23, v24, v114
	;; [unrolled: 1-line block ×8, first 2 shown]
	ds_store_b32 v74, v29 offset:1156
	v_pack_b32_f16 v24, v27, v118
	v_pack_b32_f16 v27, v28, v120
	;; [unrolled: 1-line block ×4, first 2 shown]
	ds_store_2addr_b32 v40, v17, v23 offset1:34
	ds_store_b32 v74, v18 offset:1292
	ds_store_b32 v40, v21 offset:272
	;; [unrolled: 1-line block ×9, first 2 shown]
	ds_store_2addr_b32 v40, v25, v26 offset0:204 offset1:238
	ds_store_2addr_b32 v113, v34, v35 offset0:109 offset1:143
	s_and_saveexec_b32 s0, vcc_lo
	s_cbranch_execz .LBB0_5
; %bb.4:
	v_fma_f16 v17, v112, 2.0, -v31
	v_fma_f16 v18, v111, 2.0, -v32
	s_delay_alu instid0(VALU_DEP_1)
	v_pack_b32_f16 v17, v17, v18
	v_perm_b32 v18, v32, v31, 0x5040100
	ds_store_b32 v40, v17 offset:1088
	ds_store_b32 v74, v18 offset:2244
.LBB0_5:
	s_wait_alu 0xfffe
	s_or_b32 exec_lo, exec_lo, s0
	s_add_nc_u64 s[0:1], s[8:9], 0x908
	global_wb scope:SCOPE_SE
	s_wait_dscnt 0x0
	s_barrier_signal -1
	s_barrier_wait -1
	global_inv scope:SCOPE_SE
	s_clause 0x10
	global_load_b32 v36, v[19:20], off offset:2312
	global_load_b32 v111, v110, s[0:1] offset:136
	global_load_b32 v112, v110, s[0:1] offset:272
	global_load_b32 v113, v110, s[0:1] offset:408
	global_load_b32 v114, v110, s[0:1] offset:544
	global_load_b32 v115, v110, s[0:1] offset:680
	global_load_b32 v116, v110, s[0:1] offset:816
	global_load_b32 v117, v110, s[0:1] offset:952
	global_load_b32 v118, v110, s[0:1] offset:1088
	global_load_b32 v119, v110, s[0:1] offset:1224
	global_load_b32 v120, v110, s[0:1] offset:1360
	global_load_b32 v121, v110, s[0:1] offset:1496
	global_load_b32 v122, v110, s[0:1] offset:1632
	global_load_b32 v123, v110, s[0:1] offset:1768
	global_load_b32 v124, v110, s[0:1] offset:1904
	global_load_b32 v125, v110, s[0:1] offset:2040
	global_load_b32 v110, v110, s[0:1] offset:2176
	ds_load_2addr_b32 v[17:18], v40 offset1:34
	ds_load_2addr_b32 v[19:20], v40 offset0:68 offset1:102
	ds_load_2addr_b32 v[21:22], v40 offset0:136 offset1:170
	v_add_nc_u32_e32 v33, 0x400, v40
	ds_load_2addr_b32 v[23:24], v40 offset0:204 offset1:238
	ds_load_b32 v126, v40 offset:2176
	ds_load_2addr_b32 v[25:26], v33 offset0:16 offset1:50
	ds_load_2addr_b32 v[27:28], v33 offset0:84 offset1:118
	;; [unrolled: 1-line block ×4, first 2 shown]
	s_wait_dscnt 0x8
	v_lshrrev_b32_e32 v127, 16, v17
	v_lshrrev_b32_e32 v128, 16, v18
	s_wait_dscnt 0x7
	v_lshrrev_b32_e32 v129, 16, v19
	v_lshrrev_b32_e32 v130, 16, v20
	;; [unrolled: 3-line block ×7, first 2 shown]
	v_lshrrev_b32_e32 v135, 16, v126
	s_wait_dscnt 0x0
	v_lshrrev_b32_e32 v142, 16, v34
	v_lshrrev_b32_e32 v143, 16, v35
	s_wait_loadcnt 0x10
	v_lshrrev_b32_e32 v144, 16, v36
	s_wait_loadcnt 0xf
	;; [unrolled: 2-line block ×17, first 2 shown]
	v_lshrrev_b32_e32 v160, 16, v110
	v_mul_f16_e64 v161, v127, v144
	v_mul_f16_e64 v144, v17, v144
	;; [unrolled: 1-line block ×34, first 2 shown]
	v_fma_f16 v17, v17, v36, -v161
	v_fmac_f16_e64 v144, v127, v36
	v_fma_f16 v18, v18, v111, -v162
	v_fmac_f16_e64 v145, v128, v111
	;; [unrolled: 2-line block ×17, first 2 shown]
	v_pack_b32_f16 v17, v17, v144
	v_pack_b32_f16 v18, v18, v145
	;; [unrolled: 1-line block ×17, first 2 shown]
	ds_store_2addr_b32 v40, v17, v18 offset1:34
	ds_store_2addr_b32 v40, v19, v20 offset0:68 offset1:102
	ds_store_2addr_b32 v40, v21, v22 offset0:136 offset1:170
	;; [unrolled: 1-line block ×7, first 2 shown]
	ds_store_b32 v40, v36 offset:2176
	global_wb scope:SCOPE_SE
	s_wait_dscnt 0x0
	s_barrier_signal -1
	s_barrier_wait -1
	global_inv scope:SCOPE_SE
	ds_load_2addr_b32 v[17:18], v40 offset1:34
	ds_load_b32 v122, v40 offset:2176
	ds_load_2addr_b32 v[29:30], v33 offset0:220 offset1:254
	ds_load_2addr_b32 v[112:113], v40 offset0:68 offset1:102
	;; [unrolled: 1-line block ×7, first 2 shown]
	global_wb scope:SCOPE_SE
	s_wait_dscnt 0x0
	s_barrier_signal -1
	s_barrier_wait -1
	global_inv scope:SCOPE_SE
	v_pk_add_f16 v114, v17, v18
	v_pk_add_f16 v34, v122, v18
	v_pk_add_f16 v18, v18, v122 neg_lo:[0,1] neg_hi:[0,1]
	v_pk_add_f16 v36, v30, v112
	v_pk_add_f16 v35, v112, v30 neg_lo:[0,1] neg_hi:[0,1]
	v_pk_add_f16 v112, v114, v112
	v_pk_add_f16 v121, v26, v27
	v_pk_add_f16 v120, v27, v26 neg_lo:[0,1] neg_hi:[0,1]
	v_pk_mul_f16 v114, 0xb5c8, v18 op_sel_hi:[0,1]
	v_lshrrev_b32_e32 v115, 16, v18
	v_pk_add_f16 v130, v112, v113
	v_lshrrev_b32_e32 v116, 16, v34
	v_pk_add_f16 v111, v29, v113
	v_pk_add_f16 v110, v113, v29 neg_lo:[0,1] neg_hi:[0,1]
	v_pk_mul_f16 v117, 0xb964, v35 op_sel_hi:[0,1]
	v_pk_add_f16 v27, v130, v27
	v_lshrrev_b32_e32 v118, 16, v35
	v_lshrrev_b32_e32 v119, 16, v36
	v_pk_fma_f16 v112, 0x3b76, v34, v114 op_sel:[0,0,1] op_sel_hi:[0,1,0]
	v_pk_fma_f16 v113, 0x3b76, v34, v114 op_sel:[0,0,1] op_sel_hi:[0,1,0] neg_lo:[0,0,1] neg_hi:[0,0,1]
	v_pk_add_f16 v27, v27, v28
	v_mul_f16_e64 v131, 0xb964, v115
	v_mul_f16_e64 v132, 0x39e9, v116
	v_mul_f16_e64 v133, 0xbb29, v115
	v_mul_f16_e64 v134, 0x3722, v116
	v_pk_add_f16 v27, v27, v21
	v_mul_f16_e64 v135, 0xbbf7, v115
	v_mul_f16_e64 v136, 0x2de8, v116
	;; [unrolled: 1-line block ×4, first 2 shown]
	v_pk_add_f16 v27, v27, v22
	v_lshrrev_b32_e32 v123, 16, v17
	v_pk_mul_f16 v124, 0xbb29, v110 op_sel_hi:[0,1]
	v_lshrrev_b32_e32 v125, 16, v110
	v_lshrrev_b32_e32 v126, 16, v111
	v_pk_add_f16 v27, v27, v19
	v_mul_f16_e64 v139, 0xba62, v115
	v_mul_f16_e64 v140, 0xb8d2, v116
	;; [unrolled: 1-line block ×4, first 2 shown]
	v_pk_add_f16 v27, v27, v20
	v_pk_fma_f16 v114, 0x39e9, v36, v117 op_sel:[0,0,1] op_sel_hi:[0,1,0]
	v_pk_fma_f16 v115, 0x39e9, v36, v117 op_sel:[0,0,1] op_sel_hi:[0,1,0] neg_lo:[0,0,1] neg_hi:[0,0,1]
	v_mul_f16_e64 v143, 0xbbf7, v118
	v_mul_f16_e64 v144, 0x2de8, v119
	v_pk_add_f16 v27, v27, v23
	v_mul_f16_e64 v145, 0xba62, v118
	v_mul_f16_e64 v146, 0xb8d2, v119
	;; [unrolled: 1-line block ×6, first 2 shown]
	v_bfi_b32 v130, 0xffff, v112, v113
	v_fma_f16 v171, 0x39e9, v34, v131
	v_fma_f16 v172, 0x3964, v18, v132
	v_fma_f16 v131, v34, 0x39e9, -v131
	v_fmac_f16_e64 v132, 0xb964, v18
	v_fma_f16 v173, 0x3722, v34, v133
	v_fma_f16 v174, 0x3b29, v18, v134
	v_fma_f16 v133, v34, 0x3722, -v133
	v_fmac_f16_e64 v134, 0xbb29, v18
	v_fma_f16 v175, 0x2de8, v34, v135
	v_fma_f16 v176, 0x3bf7, v18, v136
	v_fma_f16 v135, v34, 0x2de8, -v135
	v_fmac_f16_e64 v136, 0xbbf7, v18
	v_fma_f16 v177, 0xb461, v34, v137
	v_fma_f16 v178, 0x3bb2, v18, v138
	v_pk_add_f16 v27, v27, v24
	v_pk_mul_f16 v127, 0xbbf7, v120 op_sel_hi:[0,1]
	v_lshrrev_b32_e32 v128, 16, v120
	v_lshrrev_b32_e32 v129, 16, v121
	v_mul_f16_e64 v151, 0x3bb2, v118
	v_mul_f16_e64 v154, 0x3722, v119
	v_pk_fma_f16 v116, 0x3722, v111, v124 op_sel:[0,0,1] op_sel_hi:[0,1,0]
	v_pk_fma_f16 v117, 0x3722, v111, v124 op_sel:[0,0,1] op_sel_hi:[0,1,0] neg_lo:[0,0,1] neg_hi:[0,0,1]
	v_mul_f16_e32 v124, 0xba62, v125
	v_mul_f16_e64 v155, 0xb8d2, v126
	v_mul_f16_e64 v156, 0x31e1, v125
	;; [unrolled: 1-line block ×7, first 2 shown]
	v_fmac_f16_e64 v138, 0xbbb2, v18
	v_fma_f16 v179, 0xb8d2, v34, v139
	v_fma_f16 v180, 0x3a62, v18, v140
	v_fma_f16 v139, v34, 0xb8d2, -v139
	v_fmac_f16_e64 v140, 0xba62, v18
	v_fma_f16 v182, 0x3836, v18, v142
	v_fmac_f16_e64 v142, 0xb836, v18
	v_bfi_b32 v183, 0xffff, v114, v115
	v_fma_f16 v184, 0x2de8, v36, v143
	v_fma_f16 v185, 0x3bf7, v35, v144
	v_fma_f16 v143, v36, 0x2de8, -v143
	v_fmac_f16_e64 v144, 0xbbf7, v35
	v_fma_f16 v186, 0xb8d2, v36, v145
	v_fma_f16 v187, 0x3a62, v35, v146
	v_fma_f16 v145, v36, 0xb8d2, -v145
	v_fmac_f16_e64 v146, 0xba62, v35
	;; [unrolled: 4-line block ×3, first 2 shown]
	v_fma_f16 v190, 0xbacd, v36, v149
	v_fma_f16 v191, 0xb836, v35, v150
	v_pk_add_f16 v130, v17, v130
	v_add_f16_e64 v171, v17, v171
	v_add_f16_e64 v131, v17, v131
	;; [unrolled: 1-line block ×13, first 2 shown]
	v_pk_add_f16 v27, v27, v25
	v_mul_f16_e64 v152, 0xb461, v119
	v_mul_f16_e64 v153, 0x3b29, v118
	;; [unrolled: 1-line block ×4, first 2 shown]
	v_mul_f16_e32 v126, 0x2de8, v126
	v_pk_fma_f16 v118, 0x2de8, v121, v127 op_sel:[0,0,1] op_sel_hi:[0,1,0]
	v_pk_fma_f16 v119, 0x2de8, v121, v127 op_sel:[0,0,1] op_sel_hi:[0,1,0] neg_lo:[0,0,1] neg_hi:[0,0,1]
	v_mul_f16_e64 v127, 0xb1e1, v128
	v_mul_f16_e64 v164, 0xbbdd, v129
	v_mul_f16_e64 v165, 0x3bb2, v128
	v_mul_f16_e64 v166, 0xb461, v129
	v_mul_f16_e64 v168, 0x3b76, v129
	v_mul_f16_e64 v170, 0x3722, v129
	v_fma_f16 v137, v34, 0xb461, -v137
	v_fma_f16 v192, 0xb461, v36, v151
	v_fma_f16 v151, v36, 0xb461, -v151
	v_fma_f16 v195, 0xbb29, v35, v154
	v_fmac_f16_e64 v154, 0x3b29, v35
	v_bfi_b32 v196, 0xffff, v116, v117
	v_fma_f16 v197, 0xb8d2, v111, v124
	v_fma_f16 v198, 0x3a62, v110, v155
	v_fma_f16 v124, v111, 0xb8d2, -v124
	v_fmac_f16_e64 v155, 0xba62, v110
	v_fma_f16 v199, 0xbbdd, v111, v156
	v_fma_f16 v200, 0xb1e1, v110, v157
	;; [unrolled: 1-line block ×6, first 2 shown]
	v_add_f16_e64 v172, v123, v172
	v_add_f16_e64 v138, v123, v138
	;; [unrolled: 1-line block ×7, first 2 shown]
	v_pk_add_f16 v130, v183, v130
	v_add_f16_e64 v142, v184, v171
	v_add_f16_e64 v131, v143, v131
	v_add_f16_e64 v132, v144, v132
	v_add_f16_e64 v143, v186, v173
	v_add_f16_e64 v144, v187, v174
	v_add_f16_e64 v133, v145, v133
	v_add_f16_e64 v134, v146, v134
	v_add_f16_e64 v145, v188, v175
	v_add_f16_e64 v146, v189, v176
	v_add_f16_e64 v135, v147, v135
	v_add_f16_e64 v136, v148, v136
	v_add_f16_e64 v147, v190, v177
	v_add_f16_e64 v148, v191, v178
	v_pk_add_f16 v26, v27, v26
	v_mul_f16_e64 v167, 0x35c8, v128
	v_mul_f16_e64 v169, 0xbb29, v128
	v_fma_f16 v181, 0xbacd, v34, v141
	v_fma_f16 v149, v36, 0xbacd, -v149
	v_fma_f16 v193, 0xbbb2, v35, v152
	v_fmac_f16_e64 v152, 0x3bb2, v35
	v_fmac_f16_e64 v157, 0x31e1, v110
	;; [unrolled: 1-line block ×3, first 2 shown]
	v_fma_f16 v205, 0x3b76, v111, v162
	v_fma_f16 v162, v111, 0x3b76, -v162
	v_fma_f16 v208, 0x3bf7, v110, v126
	v_fmac_f16_e32 v126, 0xbbf7, v110
	v_bfi_b32 v209, 0xffff, v118, v119
	v_fma_f16 v210, 0xbbdd, v121, v127
	v_fma_f16 v211, 0x31e1, v120, v164
	v_fma_f16 v127, v121, 0xbbdd, -v127
	v_fmac_f16_e64 v164, 0xb1e1, v120
	v_fma_f16 v212, 0xb461, v121, v165
	v_fma_f16 v213, 0xbbb2, v120, v166
	;; [unrolled: 1-line block ×3, first 2 shown]
	v_add_f16_e64 v137, v17, v137
	v_add_f16_e64 v179, v17, v179
	;; [unrolled: 1-line block ×4, first 2 shown]
	v_pk_add_f16 v130, v196, v130
	v_add_f16_e64 v142, v197, v142
	v_add_f16_e64 v124, v124, v131
	;; [unrolled: 1-line block ×9, first 2 shown]
	v_pk_add_f16 v26, v26, v29
	v_fma_f16 v27, 0x3b29, v120, v170
	v_mul_f16_e64 v29, 0xb836, v128
	v_mul_f16_e32 v125, 0xbbf7, v125
	v_fmac_f16_e64 v150, 0x3836, v35
	v_fma_f16 v194, 0x3722, v36, v153
	v_fma_f16 v160, v111, 0x39e9, -v160
	v_fma_f16 v206, 0x35c8, v110, v163
	v_fmac_f16_e64 v163, 0xb5c8, v110
	v_fmac_f16_e64 v166, 0x3bb2, v120
	v_fma_f16 v214, 0x3b76, v121, v167
	v_fmac_f16_e64 v168, 0x35c8, v120
	v_fma_f16 v216, 0x3722, v121, v169
	v_add_f16_e64 v181, v17, v181
	v_add_f16_e64 v137, v149, v137
	;; [unrolled: 1-line block ×7, first 2 shown]
	v_add_f16_e32 v123, v126, v123
	v_pk_add_f16 v126, v209, v130
	v_add_f16_e64 v130, v210, v142
	v_add_f16_e32 v124, v127, v124
	v_add_f16_e64 v127, v164, v131
	v_add_f16_e64 v131, v212, v132
	;; [unrolled: 1-line block ×3, first 2 shown]
	v_pk_add_f16 v26, v26, v30
	v_add_f16_e64 v142, v215, v145
	v_mul_f16_e64 v143, 0xbacd, v129
	v_add_f16_e64 v145, v27, v147
	v_fmamk_f16 v27, v121, 0xbacd, v29
	v_fma_f16 v29, v121, 0xbacd, -v29
	v_fma_f16 v141, v34, 0xbacd, -v141
	v_fma_f16 v207, 0x2de8, v111, v125
	v_add_f16_e64 v138, v150, v138
	v_add_f16_e64 v150, v193, v180
	;; [unrolled: 1-line block ×8, first 2 shown]
	v_pk_add_f16 v26, v26, v122
	v_add_f16_e64 v122, v168, v136
	v_add_f16_e64 v136, v216, v146
	v_fma_f16 v144, v121, 0x3722, -v169
	v_fma_f16 v146, 0x3836, v120, v143
	v_mul_f16_e64 v128, 0x3a62, v128
	v_add_f16_e64 v139, v29, v139
	v_pk_add_f16 v29, v28, v25 neg_lo:[0,1] neg_hi:[0,1]
	v_fmac_f16_e64 v143, 0xb836, v120
	v_fma_f16 v153, v36, 0x3722, -v153
	v_add_f16_e64 v141, v17, v141
	v_add_f16_e64 v171, v185, v172
	;; [unrolled: 1-line block ×7, first 2 shown]
	v_mul_f16_e64 v129, 0xb8d2, v129
	v_fma_f16 v27, 0xb8d2, v121, v128
	v_pk_add_f16 v28, v25, v28
	v_pk_mul_f16 v148, 0xbbb2, v29 op_sel_hi:[0,1]
	v_add_f16_e64 v140, v143, v140
	v_lshrrev_b32_e32 v143, 16, v29
	v_fma_f16 v125, v111, 0x2de8, -v125
	v_add_f16_e64 v141, v153, v141
	v_add_f16_e64 v153, v198, v171
	;; [unrolled: 1-line block ×4, first 2 shown]
	v_fma_f16 v147, 0xba62, v120, v129
	v_add_f16_e64 v149, v27, v150
	v_pk_fma_f16 v25, 0xb461, v28, v148 op_sel:[0,0,1] op_sel_hi:[0,1,0]
	v_pk_fma_f16 v27, 0xb461, v28, v148 op_sel:[0,0,1] op_sel_hi:[0,1,0] neg_lo:[0,0,1] neg_hi:[0,0,1]
	v_mul_f16_e64 v148, 0x3836, v143
	v_lshrrev_b32_e32 v150, 16, v28
	v_add_f16_e64 v125, v125, v141
	v_add_f16_e64 v141, v211, v153
	v_add_f16_e64 v147, v147, v151
	v_fma_f16 v128, v121, 0xb8d2, -v128
	v_fmac_f16_e64 v129, 0x3a62, v120
	v_bfi_b32 v151, 0xffff, v25, v27
	v_fma_f16 v152, 0xbacd, v28, v148
	v_mul_f16_e64 v153, 0xbacd, v150
	v_fma_f16 v156, v111, 0xbbdd, -v156
	v_add_f16_e64 v125, v128, v125
	v_add_f16_e64 v123, v129, v123
	v_pk_add_f16 v126, v151, v126
	v_add_f16_e64 v128, v152, v130
	v_fma_f16 v129, 0xb836, v29, v153
	v_mul_f16_e64 v130, 0x3964, v143
	v_fma_f16 v148, v28, 0xbacd, -v148
	v_mul_f16_e64 v151, 0x39e9, v150
	v_fma_f16 v165, v121, 0xb461, -v165
	v_add_f16_e64 v133, v156, v133
	v_add_f16_e64 v129, v129, v141
	v_fma_f16 v141, 0x39e9, v28, v130
	v_add_f16_e64 v124, v148, v124
	v_fma_f16 v148, 0xb964, v29, v151
	v_mul_f16_e64 v152, 0xbb29, v143
	v_fma_f16 v158, v111, 0xb461, -v158
	v_fmac_f16_e64 v161, 0x3964, v110
	v_add_f16_e64 v133, v165, v133
	v_fmac_f16_e64 v153, 0x3836, v29
	v_add_f16_e64 v131, v141, v131
	v_fma_f16 v130, v28, 0x39e9, -v130
	v_add_f16_e64 v132, v148, v132
	v_fma_f16 v141, 0x3722, v28, v152
	v_mul_f16_e64 v148, 0x3722, v150
	v_fma_f16 v167, v121, 0x3b76, -v167
	v_add_f16_e64 v135, v158, v135
	v_add_f16_e64 v138, v161, v138
	v_fmac_f16_e64 v170, 0xbb29, v120
	v_add_f16_e64 v127, v153, v127
	v_fmac_f16_e64 v151, 0x3964, v29
	v_add_f16_e64 v130, v130, v133
	v_mul_f16_e64 v133, 0xb1e1, v143
	v_add_f16_e64 v134, v141, v134
	v_fma_f16 v141, 0x3b29, v29, v148
	v_fmac_f16_e64 v148, 0xbb29, v29
	v_mul_f16_e64 v153, 0xbbdd, v150
	v_add_f16_e64 v135, v167, v135
	v_add_f16_e64 v138, v170, v138
	;; [unrolled: 1-line block ×3, first 2 shown]
	v_fma_f16 v151, v28, 0x3722, -v152
	v_fma_f16 v152, 0xbbdd, v28, v133
	v_add_f16_e64 v141, v141, v142
	v_add_f16_e64 v122, v148, v122
	v_fma_f16 v142, 0x31e1, v29, v153
	v_mul_f16_e64 v148, 0x3bf7, v143
	v_fma_f16 v133, v28, 0xbbdd, -v133
	v_fmac_f16_e64 v153, 0xb1e1, v29
	v_add_f16_e64 v135, v151, v135
	v_mul_f16_e64 v151, 0x2de8, v150
	v_add_f16_e64 v136, v152, v136
	v_add_f16_e64 v133, v133, v137
	;; [unrolled: 1-line block ×3, first 2 shown]
	v_fma_f16 v138, v28, 0x2de8, -v148
	v_add_f16_e64 v142, v142, v145
	v_fma_f16 v145, 0x2de8, v28, v148
	v_fma_f16 v152, 0xbbf7, v29, v151
	v_mul_f16_e64 v143, 0xb5c8, v143
	v_add_f16_e64 v138, v138, v139
	v_pk_add_f16 v139, v21, v24 neg_lo:[0,1] neg_hi:[0,1]
	v_add_f16_e64 v144, v145, v144
	v_add_f16_e64 v145, v152, v146
	v_mul_f16_e64 v146, 0x3b76, v150
	v_fmac_f16_e64 v151, 0x3bf7, v29
	v_fma_f16 v148, 0x3b76, v28, v143
	v_pk_add_f16 v21, v24, v21
	v_pk_mul_f16 v24, 0xba62, v139 op_sel_hi:[0,1]
	v_fma_f16 v150, 0x35c8, v29, v146
	v_add_f16_e64 v140, v151, v140
	v_lshrrev_b32_e32 v151, 16, v139
	v_add_f16_e64 v148, v148, v149
	v_pk_fma_f16 v149, 0xb8d2, v21, v24 op_sel:[0,0,1] op_sel_hi:[0,1,0]
	v_pk_fma_f16 v24, 0xb8d2, v21, v24 op_sel:[0,0,1] op_sel_hi:[0,1,0] neg_lo:[0,0,1] neg_hi:[0,0,1]
	v_lshrrev_b32_e32 v152, 16, v21
	v_add_f16_e64 v147, v150, v147
	v_mul_f16_e64 v150, 0x3bb2, v151
	v_fma_f16 v143, v28, 0x3b76, -v143
	v_fmac_f16_e64 v146, 0xb5c8, v29
	v_bfi_b32 v153, 0xffff, v149, v24
	v_mul_f16_e64 v155, 0xb461, v152
	v_fma_f16 v154, 0xb461, v21, v150
	v_add_f16_e64 v125, v143, v125
	v_add_f16_e64 v123, v146, v123
	v_pk_add_f16 v126, v153, v126
	v_fma_f16 v143, 0xbbb2, v139, v155
	v_mul_f16_e64 v146, 0xb5c8, v151
	v_fma_f16 v150, v21, 0xb461, -v150
	v_mul_f16_e64 v153, 0x3b76, v152
	v_add_f16_e64 v128, v154, v128
	v_add_f16_e64 v129, v143, v129
	v_fma_f16 v143, 0x3b76, v21, v146
	v_add_f16_e64 v124, v150, v124
	v_fma_f16 v150, 0x35c8, v139, v153
	v_mul_f16_e64 v154, 0xb836, v151
	v_fmac_f16_e64 v155, 0x3bb2, v139
	v_add_f16_e64 v131, v143, v131
	v_fma_f16 v143, v21, 0x3b76, -v146
	v_add_f16_e64 v132, v150, v132
	v_fma_f16 v146, 0xbacd, v21, v154
	v_mul_f16_e64 v150, 0xbacd, v152
	v_add_f16_e64 v127, v155, v127
	v_fmac_f16_e64 v153, 0xb5c8, v139
	v_add_f16_e64 v130, v143, v130
	v_mul_f16_e64 v143, 0x3bf7, v151
	v_add_f16_e64 v134, v146, v134
	v_fma_f16 v146, 0x3836, v139, v150
	v_fmac_f16_e64 v150, 0xb836, v139
	v_mul_f16_e64 v155, 0x2de8, v152
	v_add_f16_e64 v30, v153, v30
	v_fma_f16 v153, v21, 0xbacd, -v154
	v_fma_f16 v154, 0x2de8, v21, v143
	v_add_f16_e64 v141, v146, v141
	v_add_f16_e64 v122, v150, v122
	v_fma_f16 v146, 0xbbf7, v139, v155
	v_mul_f16_e64 v150, 0xb964, v151
	v_fma_f16 v143, v21, 0x2de8, -v143
	v_add_f16_e64 v135, v153, v135
	v_mul_f16_e64 v153, 0x39e9, v152
	v_add_f16_e64 v142, v146, v142
	v_fma_f16 v146, 0x39e9, v21, v150
	v_add_f16_e64 v133, v143, v133
	v_fma_f16 v143, v21, 0x39e9, -v150
	v_add_f16_e64 v136, v154, v136
	v_fma_f16 v154, 0x3964, v139, v153
	v_add_f16_e64 v144, v146, v144
	v_mul_f16_e64 v146, 0xb1e1, v151
	v_add_f16_e64 v138, v143, v138
	v_pk_add_f16 v143, v22, v23 neg_lo:[0,1] neg_hi:[0,1]
	v_mul_f16_e64 v150, 0xbbdd, v152
	v_fmac_f16_e64 v153, 0xb964, v139
	v_fma_f16 v151, 0xbbdd, v21, v146
	v_pk_add_f16 v22, v23, v22
	v_pk_mul_f16 v23, 0xb836, v143 op_sel_hi:[0,1]
	v_fmac_f16_e64 v155, 0x3bf7, v139
	v_add_f16_e64 v145, v154, v145
	v_fma_f16 v152, 0x31e1, v139, v150
	v_add_f16_e64 v140, v153, v140
	v_lshrrev_b32_e32 v153, 16, v143
	v_add_f16_e64 v148, v151, v148
	v_pk_fma_f16 v151, 0xbacd, v22, v23 op_sel:[0,0,1] op_sel_hi:[0,1,0]
	v_pk_fma_f16 v23, 0xbacd, v22, v23 op_sel:[0,0,1] op_sel_hi:[0,1,0] neg_lo:[0,0,1] neg_hi:[0,0,1]
	v_lshrrev_b32_e32 v154, 16, v22
	v_add_f16_e64 v137, v155, v137
	v_add_f16_e64 v147, v152, v147
	v_mul_f16_e64 v152, 0x3b29, v153
	v_fma_f16 v146, v21, 0xbbdd, -v146
	v_fmac_f16_e64 v150, 0xb1e1, v139
	v_bfi_b32 v155, 0xffff, v151, v23
	v_mul_f16_e64 v157, 0x3722, v154
	v_fma_f16 v156, 0x3722, v22, v152
	v_add_f16_e64 v125, v146, v125
	v_add_f16_e64 v123, v150, v123
	v_pk_add_f16 v126, v155, v126
	v_fma_f16 v146, 0xbb29, v143, v157
	v_mul_f16_e64 v150, 0xbbf7, v153
	v_fma_f16 v152, v22, 0x3722, -v152
	v_mul_f16_e64 v155, 0x2de8, v154
	v_add_f16_e64 v128, v156, v128
	v_add_f16_e64 v129, v146, v129
	v_fma_f16 v146, 0x2de8, v22, v150
	v_add_f16_e64 v124, v152, v124
	v_fma_f16 v152, 0x3bf7, v143, v155
	v_mul_f16_e64 v156, 0x3a62, v153
	v_fmac_f16_e64 v157, 0x3b29, v143
	v_add_f16_e64 v131, v146, v131
	v_fma_f16 v146, v22, 0x2de8, -v150
	v_add_f16_e64 v132, v152, v132
	v_fma_f16 v150, 0xb8d2, v22, v156
	v_mul_f16_e64 v152, 0xb8d2, v154
	v_add_f16_e64 v127, v157, v127
	v_mul_f16_e64 v157, 0x3b76, v154
	v_fmac_f16_e64 v155, 0xbbf7, v143
	v_add_f16_e64 v134, v150, v134
	v_fma_f16 v150, 0xba62, v143, v152
	v_fmac_f16_e64 v152, 0x3a62, v143
	v_add_f16_e64 v130, v146, v130
	v_mul_f16_e64 v146, 0xb5c8, v153
	v_add_f16_e64 v30, v155, v30
	v_add_f16_e64 v141, v150, v141
	;; [unrolled: 1-line block ×3, first 2 shown]
	v_fma_f16 v150, 0x35c8, v143, v157
	v_mul_f16_e64 v152, 0xb1e1, v153
	v_fma_f16 v155, v22, 0xb8d2, -v156
	v_fma_f16 v156, 0x3b76, v22, v146
	v_fma_f16 v146, v22, 0x3b76, -v146
	v_add_f16_e64 v142, v150, v142
	v_fma_f16 v150, 0xbbdd, v22, v152
	v_add_f16_e64 v135, v155, v135
	v_mul_f16_e64 v155, 0xbbdd, v154
	v_add_f16_e64 v133, v146, v133
	v_fma_f16 v146, v22, 0xbbdd, -v152
	v_add_f16_e64 v144, v150, v144
	v_mul_f16_e64 v150, 0x3964, v153
	v_add_f16_e64 v136, v156, v136
	v_fma_f16 v156, 0x31e1, v143, v155
	v_add_f16_e64 v138, v146, v138
	v_pk_add_f16 v146, v19, v20 neg_lo:[0,1] neg_hi:[0,1]
	v_fma_f16 v153, 0x39e9, v22, v150
	v_fmac_f16_e64 v155, 0xb1e1, v143
	v_pk_add_f16 v19, v20, v19
	v_add_f16_e64 v145, v156, v145
	v_mul_f16_e64 v152, 0x39e9, v154
	v_add_f16_e64 v148, v153, v148
	v_lshrrev_b32_e32 v153, 16, v146
	v_add_f16_e64 v140, v155, v140
	v_fma_f16 v150, v22, 0x39e9, -v150
	v_lshrrev_b32_e32 v156, 16, v19
	v_fma_f16 v154, 0xb964, v143, v152
	v_mul_f16_e64 v155, 0x35c8, v153
	v_pk_mul_f16 v20, 0xb1e1, v146 op_sel_hi:[0,1]
	v_add_f16_e64 v125, v150, v125
	v_mul_f16_e64 v158, 0x3b76, v156
	v_fmac_f16_e64 v157, 0xb5c8, v143
	v_fma_f16 v150, 0x3b76, v19, v155
	v_add_f16_e64 v147, v154, v147
	v_pk_fma_f16 v154, 0xbbdd, v19, v20 op_sel:[0,0,1] op_sel_hi:[0,1,0]
	v_pk_fma_f16 v20, 0xbbdd, v19, v20 op_sel:[0,0,1] op_sel_hi:[0,1,0] neg_lo:[0,0,1] neg_hi:[0,0,1]
	v_fmac_f16_e64 v152, 0x3964, v143
	v_add_f16_e64 v128, v150, v128
	v_fma_f16 v150, 0xb5c8, v146, v158
	v_fma_f16 v155, v19, 0x3b76, -v155
	v_mul_f16_e64 v159, 0xbacd, v156
	v_add_f16_e64 v137, v157, v137
	v_bfi_b32 v157, 0xffff, v154, v20
	v_add_f16_e64 v123, v152, v123
	v_mul_f16_e64 v152, 0xb836, v153
	v_add_f16_e64 v129, v150, v129
	v_add_f16_e64 v124, v155, v124
	v_fma_f16 v150, 0x3836, v146, v159
	v_mul_f16_e64 v155, 0x3964, v153
	v_pk_add_f16 v126, v157, v126
	v_fma_f16 v157, 0xbacd, v19, v152
	v_fmac_f16_e64 v158, 0x35c8, v146
	v_add_f16_e64 v132, v150, v132
	v_fma_f16 v150, 0x39e9, v19, v155
	v_fma_f16 v152, v19, 0xbacd, -v152
	v_add_f16_e64 v131, v157, v131
	v_mul_f16_e64 v157, 0x39e9, v156
	v_add_f16_e64 v127, v158, v127
	v_add_f16_e64 v134, v150, v134
	v_fma_f16 v150, v19, 0x39e9, -v155
	v_add_f16_e64 v130, v152, v130
	v_fma_f16 v152, 0xb964, v146, v157
	v_mul_f16_e64 v158, 0xba62, v153
	v_fmac_f16_e64 v157, 0x3964, v146
	v_add_f16_e64 v135, v150, v135
	v_mul_f16_e64 v150, 0x3b29, v153
	v_add_f16_e64 v141, v152, v141
	v_fma_f16 v152, 0xb8d2, v19, v158
	v_add_f16_e64 v122, v157, v122
	v_fma_f16 v157, v19, 0xb8d2, -v158
	v_fma_f16 v158, 0x3722, v19, v150
	v_fma_f16 v150, v19, 0x3722, -v150
	v_mul_f16_e64 v153, 0xbbb2, v153
	v_mul_f16_e64 v155, 0xb8d2, v156
	v_pk_mul_f16 v34, 0xbbdd, v34 op_sel_hi:[0,1]
	v_add_f16_e64 v136, v152, v136
	v_add_f16_e64 v138, v150, v138
	v_fma_f16 v150, 0xb461, v19, v153
	v_fma_f16 v152, 0x3a62, v146, v155
	v_pk_mul_f16 v36, 0x3b76, v36 op_sel_hi:[0,1]
	v_pack_b32_f16 v131, v131, v132
	v_pk_mul_f16 v111, 0xbacd, v111 op_sel_hi:[0,1]
	v_add_f16_e64 v148, v150, v148
	v_pk_fma_f16 v150, 0xb1e1, v18, v34 op_sel:[0,0,1] op_sel_hi:[0,1,0]
	v_pk_fma_f16 v18, 0xb1e1, v18, v34 op_sel:[0,0,1] op_sel_hi:[0,1,0] neg_lo:[0,1,0] neg_hi:[0,1,0]
	v_add_f16_e64 v142, v152, v142
	v_pk_fma_f16 v34, 0x35c8, v35, v36 op_sel:[0,0,1] op_sel_hi:[0,1,0]
	v_pk_fma_f16 v35, 0x35c8, v35, v36 op_sel:[0,0,1] op_sel_hi:[0,1,0] neg_lo:[0,1,0] neg_hi:[0,1,0]
	s_wait_alu 0xfffe
	v_alignbit_b32 v132, s0, v150, 16
	v_pk_add_f16 v18, v17, v18 op_sel:[1,0] op_sel_hi:[0,1]
	v_pack_b32_f16 v128, v128, v129
	v_pack_b32_f16 v129, v136, v142
	v_alignbit_b32 v136, s0, v17, 16
	v_pk_add_f16 v132, v17, v132
	v_alignbit_b32 v142, s0, v34, 16
	v_pk_fma_f16 v36, 0xb836, v110, v111 op_sel:[0,0,1] op_sel_hi:[0,1,0]
	v_pk_mul_f16 v121, 0x39e9, v121 op_sel_hi:[0,1]
	v_pk_add_f16 v18, v35, v18
	v_pk_fma_f16 v110, 0xb836, v110, v111 op_sel:[0,0,1] op_sel_hi:[0,1,0] neg_lo:[0,1,0] neg_hi:[0,1,0]
	v_pk_add_f16 v136, v136, v150
	v_pk_add_f16 v132, v142, v132
	v_alignbit_b32 v35, s0, v36, 16
	v_pk_fma_f16 v111, 0x3964, v120, v121 op_sel:[0,0,1] op_sel_hi:[0,1,0]
	v_pk_mul_f16 v28, 0xb8d2, v28 op_sel_hi:[0,1]
	v_pk_add_f16 v18, v110, v18
	v_pk_fma_f16 v120, 0x3964, v120, v121 op_sel:[0,0,1] op_sel_hi:[0,1,0] neg_lo:[0,1,0] neg_hi:[0,1,0]
	v_pk_add_f16 v34, v34, v136
	v_pk_add_f16 v35, v35, v132
	v_alignbit_b32 v110, s0, v111, 16
	v_pk_fma_f16 v121, 0xba62, v29, v28 op_sel:[0,0,1] op_sel_hi:[0,1,0]
	v_pk_add_f16 v18, v120, v18
	v_pk_fma_f16 v28, 0xba62, v29, v28 op_sel:[0,0,1] op_sel_hi:[0,1,0] neg_lo:[0,1,0] neg_hi:[0,1,0]
	v_pk_add_f16 v34, v36, v34
	v_pk_add_f16 v35, v110, v35
	v_alignbit_b32 v36, s0, v121, 16
	v_pk_mul_f16 v21, 0x3722, v21 op_sel_hi:[0,1]
	v_pk_add_f16 v18, v28, v18
	v_bfi_b32 v28, 0xffff, v113, v112
	v_pk_add_f16 v34, v111, v34
	v_pk_add_f16 v35, v36, v35
	v_pk_fma_f16 v36, 0x3b29, v139, v21 op_sel:[0,0,1] op_sel_hi:[0,1,0]
	v_pk_mul_f16 v22, 0xb461, v22 op_sel_hi:[0,1]
	v_pk_add_f16 v17, v17, v28
	v_bfi_b32 v28, 0xffff, v115, v114
	v_pk_add_f16 v34, v121, v34
	v_alignbit_b32 v110, s0, v36, 16
	v_pk_fma_f16 v21, 0x3b29, v139, v21 op_sel:[0,0,1] op_sel_hi:[0,1,0] neg_lo:[0,1,0] neg_hi:[0,1,0]
	v_pk_fma_f16 v111, 0xbbb2, v143, v22 op_sel:[0,0,1] op_sel_hi:[0,1,0]
	v_pk_add_f16 v17, v28, v17
	v_bfi_b32 v28, 0xffff, v117, v116
	v_fmac_f16_e64 v159, 0xb836, v146
	v_fma_f16 v153, v19, 0xb461, -v153
	v_pk_add_f16 v35, v110, v35
	v_pk_add_f16 v18, v21, v18
	v_alignbit_b32 v21, s0, v111, 16
	v_pk_mul_f16 v19, 0x2de8, v19 op_sel_hi:[0,1]
	v_pk_add_f16 v34, v36, v34
	v_pk_fma_f16 v22, 0xbbb2, v143, v22 op_sel:[0,0,1] op_sel_hi:[0,1,0] neg_lo:[0,1,0] neg_hi:[0,1,0]
	v_pk_add_f16 v17, v28, v17
	v_bfi_b32 v28, 0xffff, v119, v118
	v_add_f16_e64 v30, v159, v30
	v_fmac_f16_e64 v155, 0xba62, v146
	v_mul_f16_e64 v159, 0x3722, v156
	v_pk_add_f16 v21, v21, v35
	v_pk_fma_f16 v35, 0x3bf7, v146, v19 op_sel:[0,0,1] op_sel_hi:[0,1,0]
	v_pk_add_f16 v18, v22, v18
	v_pk_add_f16 v22, v111, v34
	v_pk_fma_f16 v19, 0x3bf7, v146, v19 op_sel:[0,0,1] op_sel_hi:[0,1,0] neg_lo:[0,1,0] neg_hi:[0,1,0]
	v_pk_add_f16 v17, v28, v17
	v_bfi_b32 v25, 0xffff, v27, v25
	v_add_f16_e64 v137, v155, v137
	v_fma_f16 v152, 0xbb29, v146, v159
	v_mul_f16_e64 v155, 0xb461, v156
	v_pk_add_f16 v18, v19, v18
	v_pk_add_f16 v19, v35, v22
	v_pk_add_f16 v17, v25, v17
	v_bfi_b32 v22, 0xffff, v24, v149
	v_alignbit_b32 v34, s0, v35, 16
	v_fmac_f16_e64 v159, 0x3b29, v146
	v_add_f16_e64 v145, v152, v145
	v_fma_f16 v152, 0x3bb2, v146, v155
	v_fmac_f16_e64 v155, 0xbbb2, v146
	v_pk_add_f16 v17, v22, v17
	v_bfi_b32 v22, 0xffff, v23, v151
	v_pk_add_f16 v21, v34, v21
	v_add_f16_e64 v144, v158, v144
	v_add_f16_e64 v140, v159, v140
	;; [unrolled: 1-line block ×6, first 2 shown]
	v_pk_add_f16 v17, v22, v17
	v_bfi_b32 v20, 0xffff, v20, v154
	v_pack_b32_f16 v132, v134, v141
	v_alignbit_b32 v19, v19, v18, 16
	v_pack_b32_f16 v18, v21, v18
	v_pack_b32_f16 v29, v148, v147
	;; [unrolled: 1-line block ×7, first 2 shown]
	ds_store_2addr_b32 v75, v26, v126 offset1:1
	ds_store_2addr_b32 v75, v128, v131 offset0:2 offset1:3
	ds_store_2addr_b32 v75, v132, v129 offset0:4 offset1:5
	;; [unrolled: 1-line block ×3, first 2 shown]
	v_pack_b32_f16 v25, v124, v127
	v_pack_b32_f16 v26, v130, v30
	v_pk_add_f16 v17, v20, v17
	ds_store_2addr_b32 v75, v18, v19 offset0:8 offset1:9
	ds_store_2addr_b32 v75, v23, v21 offset0:10 offset1:11
	;; [unrolled: 1-line block ×4, first 2 shown]
	ds_store_b32 v75, v17 offset:64
	global_wb scope:SCOPE_SE
	s_wait_dscnt 0x0
	s_barrier_signal -1
	s_barrier_wait -1
	global_inv scope:SCOPE_SE
	ds_load_2addr_b32 v[25:26], v40 offset1:34
	ds_load_2addr_b32 v[17:18], v40 offset0:68 offset1:102
	ds_load_2addr_b32 v[21:22], v40 offset0:136 offset1:170
	;; [unrolled: 1-line block ×7, first 2 shown]
	ds_load_b32 v36, v40 offset:2176
	global_wb scope:SCOPE_SE
	s_wait_dscnt 0x0
	s_barrier_signal -1
	s_barrier_wait -1
	global_inv scope:SCOPE_SE
	v_lshrrev_b32_e32 v19, 16, v26
	v_lshrrev_b32_e32 v20, 16, v17
	;; [unrolled: 1-line block ×3, first 2 shown]
	v_mul_f16_e32 v23, v109, v26
	v_lshrrev_b32_e32 v114, 16, v21
	v_mul_f16_e32 v124, v109, v19
	v_lshrrev_b32_e32 v115, 16, v22
	v_lshrrev_b32_e32 v116, 16, v27
	v_fma_f16 v127, v12, v19, -v23
	v_mul_f16_e64 v128, v81, v24
	v_fmac_f16_e32 v124, v12, v26
	v_mul_f16_e32 v26, v82, v20
	v_mul_f16_e32 v82, v82, v17
	;; [unrolled: 1-line block ×3, first 2 shown]
	v_lshrrev_b32_e32 v75, 16, v25
	v_lshrrev_b32_e32 v117, 16, v28
	v_fmac_f16_e32 v26, v13, v17
	v_fma_f16 v81, v13, v20, -v82
	v_mul_f16_e32 v23, v79, v114
	v_fmac_f16_e64 v128, v14, v18
	v_fma_f16 v82, v14, v24, -v12
	v_mul_f16_e32 v12, v79, v21
	v_mul_f16_e32 v20, v80, v115
	;; [unrolled: 1-line block ×5, first 2 shown]
	v_fmac_f16_e32 v23, v15, v21
	v_fma_f16 v24, v15, v114, -v12
	v_fmac_f16_e32 v20, v8, v22
	v_fma_f16 v21, v8, v115, -v13
	v_fmac_f16_e32 v17, v9, v27
	v_mul_f16_e32 v12, v77, v117
	v_mul_f16_e32 v8, v77, v28
	v_fma_f16 v18, v9, v116, -v14
	v_add_f16_e32 v9, v25, v124
	v_add_f16_e32 v14, v75, v127
	v_fmac_f16_e32 v12, v10, v28
	v_fma_f16 v13, v10, v117, -v8
	v_lshrrev_b32_e32 v118, 16, v29
	v_add_f16_e32 v10, v9, v26
	v_add_f16_e32 v14, v14, v81
	v_mul_f16_e32 v15, v76, v29
	v_lshrrev_b32_e32 v119, 16, v30
	v_lshrrev_b32_e32 v120, 16, v34
	v_add_f16_e64 v19, v10, v128
	v_add_f16_e32 v14, v14, v82
	v_mul_f16_e32 v8, v76, v118
	v_fma_f16 v10, v11, v118, -v15
	v_mul_f16_e32 v9, v93, v119
	v_add_f16_e32 v15, v19, v23
	v_add_f16_e32 v19, v14, v24
	v_fmac_f16_e32 v8, v11, v29
	v_mul_f16_e32 v11, v93, v30
	v_mul_f16_e32 v14, v94, v120
	;; [unrolled: 1-line block ×3, first 2 shown]
	v_add_f16_e32 v27, v19, v21
	v_fmac_f16_e32 v9, v0, v30
	v_fma_f16 v11, v0, v119, -v11
	v_add_f16_e32 v0, v15, v20
	v_fmac_f16_e32 v14, v1, v34
	v_fma_f16 v15, v1, v120, -v22
	v_add_f16_e32 v1, v27, v18
	v_lshrrev_b32_e32 v121, 16, v35
	v_add_f16_e32 v0, v0, v17
	v_lshrrev_b32_e32 v122, 16, v110
	v_mul_f16_e32 v27, v96, v35
	v_add_f16_e32 v1, v1, v13
	v_mul_f16_e32 v19, v96, v121
	v_add_f16_e32 v0, v0, v12
	v_lshrrev_b32_e32 v123, 16, v111
	v_mul_f16_e32 v22, v97, v122
	v_add_f16_e32 v1, v1, v10
	v_fmac_f16_e32 v19, v2, v35
	v_add_f16_e32 v0, v0, v8
	v_fma_f16 v2, v2, v121, -v27
	v_mul_f16_e32 v27, v97, v110
	v_add_f16_e32 v1, v1, v11
	v_lshrrev_b32_e32 v125, 16, v112
	v_add_f16_e32 v0, v0, v9
	v_fmac_f16_e32 v22, v3, v110
	v_mul_f16_e32 v28, v95, v123
	v_add_f16_e32 v1, v1, v15
	v_mul_f16_e32 v29, v95, v111
	v_fma_f16 v3, v3, v122, -v27
	v_add_f16_e32 v0, v0, v14
	v_lshrrev_b32_e32 v126, 16, v113
	v_add_f16_e32 v1, v1, v2
	v_fmac_f16_e32 v28, v4, v111
	v_fma_f16 v4, v4, v123, -v29
	v_mul_f16_e32 v27, v100, v125
	v_mul_f16_e32 v29, v100, v112
	v_add_f16_e32 v0, v0, v19
	v_add_f16_e32 v1, v1, v3
	v_lshrrev_b32_e32 v109, 16, v36
	v_mul_f16_e32 v30, v98, v126
	v_fmac_f16_e32 v27, v5, v112
	v_fma_f16 v5, v5, v125, -v29
	v_mul_f16_e32 v29, v99, v36
	v_add_f16_e32 v0, v0, v22
	v_mul_f16_e32 v35, v98, v113
	v_add_f16_e32 v1, v1, v4
	v_fmac_f16_e32 v30, v6, v113
	v_mul_f16_e32 v34, v99, v109
	v_fma_f16 v29, v7, v109, -v29
	v_add_f16_e32 v0, v0, v28
	v_fma_f16 v6, v6, v126, -v35
	v_add_f16_e32 v1, v1, v5
	v_fmac_f16_e32 v34, v7, v36
	v_sub_f16_e32 v7, v127, v29
	v_add_f16_e32 v0, v0, v27
	v_add_f16_e32 v36, v127, v29
	;; [unrolled: 1-line block ×4, first 2 shown]
	v_mul_f16_e32 v76, 0xb5c8, v7
	v_add_f16_e32 v0, v0, v30
	v_sub_f16_e32 v77, v124, v34
	v_mul_f16_e32 v78, 0x3b76, v36
	v_add_f16_e32 v1, v1, v29
	v_mul_f16_e32 v29, 0xb964, v7
	v_mul_f16_e32 v93, 0x39e9, v36
	;; [unrolled: 1-line block ×14, first 2 shown]
	v_sub_f16_e32 v124, v81, v6
	v_add_f16_e32 v6, v81, v6
	v_fmamk_f16 v79, v35, 0x3b76, v76
	v_add_f16_e32 v0, v0, v34
	v_fmamk_f16 v34, v77, 0x35c8, v78
	v_fma_f16 v76, v35, 0x3b76, -v76
	v_fmac_f16_e32 v78, 0xb5c8, v77
	v_fmamk_f16 v80, v35, 0x39e9, v29
	v_fmamk_f16 v95, v77, 0x3964, v93
	v_fma_f16 v29, v35, 0x39e9, -v29
	v_fmac_f16_e32 v93, 0xb964, v77
	v_fmamk_f16 v97, v35, 0x3722, v94
	v_fmamk_f16 v98, v77, 0x3b29, v96
	v_fma_f16 v94, v35, 0x3722, -v94
	v_fmac_f16_e32 v96, 0xbb29, v77
	v_fmamk_f16 v109, v35, 0x2de8, v99
	v_fmamk_f16 v111, v77, 0x3bf7, v100
	v_fma_f16 v99, v35, 0x2de8, -v99
	v_fmac_f16_e32 v100, 0xbbf7, v77
	v_fmamk_f16 v112, v35, 0xb461, v110
	v_fmamk_f16 v115, v77, 0x3bb2, v113
	v_fma_f16 v110, v35, 0xb461, -v110
	v_fmac_f16_e32 v113, 0xbbb2, v77
	v_fmamk_f16 v117, v35, 0xb8d2, v114
	v_fmamk_f16 v118, v77, 0x3a62, v116
	v_fma_f16 v114, v35, 0xb8d2, -v114
	v_fmac_f16_e32 v116, 0xba62, v77
	v_fmamk_f16 v121, v35, 0xbacd, v119
	v_fmamk_f16 v122, v77, 0x3836, v120
	v_fma_f16 v119, v35, 0xbacd, -v119
	v_fmac_f16_e32 v120, 0xb836, v77
	v_fmamk_f16 v123, v35, 0xbbdd, v7
	v_fmamk_f16 v125, v77, 0x31e1, v36
	v_fma_f16 v7, v35, 0xbbdd, -v7
	v_add_f16_e32 v35, v26, v30
	v_mul_f16_e32 v81, 0xb964, v124
	v_fmac_f16_e32 v36, 0xb1e1, v77
	v_sub_f16_e32 v26, v26, v30
	v_mul_f16_e32 v30, 0x39e9, v6
	v_add_f16_e32 v79, v25, v79
	v_add_f16_e32 v34, v75, v34
	;; [unrolled: 1-line block ×30, first 2 shown]
	v_fmamk_f16 v125, v35, 0x39e9, v81
	v_add_f16_e32 v7, v25, v7
	v_add_f16_e32 v25, v75, v36
	v_fmamk_f16 v36, v26, 0x3964, v30
	v_mul_f16_e32 v75, 0xbbf7, v124
	v_fmac_f16_e32 v30, 0xb964, v26
	v_add_f16_e32 v79, v125, v79
	v_fma_f16 v81, v35, 0x39e9, -v81
	v_add_f16_e32 v34, v36, v34
	v_fmamk_f16 v36, v35, 0x2de8, v75
	v_mul_f16_e32 v125, 0x2de8, v6
	v_add_f16_e32 v30, v30, v78
	v_mul_f16_e32 v78, 0xba62, v124
	v_add_f16_e32 v76, v81, v76
	v_add_f16_e32 v36, v36, v80
	v_fmamk_f16 v80, v26, 0x3bf7, v125
	v_fma_f16 v75, v35, 0x2de8, -v75
	v_fmac_f16_e32 v125, 0xbbf7, v26
	v_fmamk_f16 v81, v35, 0xb8d2, v78
	v_mul_f16_e32 v126, 0xb8d2, v6
	v_add_f16_e32 v80, v80, v95
	v_add_f16_e32 v29, v75, v29
	;; [unrolled: 1-line block ×4, first 2 shown]
	v_fmamk_f16 v93, v26, 0x3a62, v126
	v_mul_f16_e32 v95, 0xb1e1, v124
	v_fma_f16 v78, v35, 0xb8d2, -v78
	v_fmac_f16_e32 v126, 0xba62, v26
	v_mul_f16_e32 v97, 0xbbdd, v6
	v_add_f16_e32 v93, v93, v98
	v_fmamk_f16 v98, v35, 0xbbdd, v95
	v_add_f16_e32 v78, v78, v94
	v_add_f16_e32 v94, v126, v96
	v_fmamk_f16 v96, v26, 0x31e1, v97
	v_mul_f16_e32 v125, 0x3836, v124
	v_add_f16_e32 v98, v98, v109
	v_fma_f16 v95, v35, 0xbbdd, -v95
	v_fmac_f16_e32 v97, 0xb1e1, v26
	v_add_f16_e32 v96, v96, v111
	v_fmamk_f16 v109, v35, 0xbacd, v125
	v_mul_f16_e32 v111, 0xbacd, v6
	v_add_f16_e32 v95, v95, v99
	v_add_f16_e32 v97, v97, v100
	v_mul_f16_e32 v99, 0x3bb2, v124
	v_add_f16_e32 v100, v109, v112
	v_fmamk_f16 v109, v26, 0xb836, v111
	v_fmac_f16_e32 v111, 0x3836, v26
	v_mul_f16_e32 v126, 0xb461, v6
	v_fma_f16 v112, v35, 0xbacd, -v125
	v_fmamk_f16 v125, v35, 0xb461, v99
	v_add_f16_e32 v109, v109, v115
	v_add_f16_e32 v111, v111, v113
	v_fmamk_f16 v113, v26, 0xbbb2, v126
	v_mul_f16_e32 v115, 0x3b29, v124
	v_add_f16_e32 v110, v112, v110
	v_add_f16_e32 v112, v125, v117
	v_fma_f16 v99, v35, 0xb461, -v99
	v_mul_f16_e32 v117, 0x3722, v6
	v_add_f16_e32 v113, v113, v118
	v_fmamk_f16 v118, v35, 0x3722, v115
	v_mul_f16_e32 v124, 0x35c8, v124
	v_fma_f16 v115, v35, 0x3722, -v115
	v_add_f16_e32 v99, v99, v114
	v_fmamk_f16 v114, v26, 0xbb29, v117
	v_add_f16_e32 v118, v118, v121
	v_fmac_f16_e32 v117, 0x3b29, v26
	v_fmamk_f16 v121, v35, 0x3b76, v124
	v_add_f16_e32 v115, v115, v119
	v_sub_f16_e32 v119, v82, v5
	v_add_f16_e32 v114, v114, v122
	v_mul_f16_e32 v6, 0x3b76, v6
	v_add_f16_e32 v117, v117, v120
	v_add_f16_e32 v120, v121, v123
	v_add_f16_e64 v122, v128, v27
	v_mul_f16_e32 v123, 0xbb29, v119
	v_add_f16_e32 v5, v82, v5
	v_fmac_f16_e32 v126, 0x3bb2, v26
	v_fmamk_f16 v121, v26, 0xb5c8, v6
	v_fma_f16 v35, v35, 0x3b76, -v124
	v_fmac_f16_e32 v6, 0x35c8, v26
	v_sub_f16_e64 v26, v128, v27
	v_fmamk_f16 v27, v122, 0x3722, v123
	v_mul_f16_e32 v82, 0x3722, v5
	v_add_f16_e32 v77, v121, v77
	v_add_f16_e32 v7, v35, v7
	;; [unrolled: 1-line block ×4, first 2 shown]
	v_fmamk_f16 v27, v26, 0x3b29, v82
	v_mul_f16_e32 v35, 0xba62, v119
	v_fma_f16 v79, v122, 0x3722, -v123
	v_fmac_f16_e32 v82, 0xbb29, v26
	v_mul_f16_e32 v121, 0xb8d2, v5
	v_add_f16_e32 v27, v27, v34
	v_fmamk_f16 v34, v122, 0xb8d2, v35
	v_add_f16_e32 v76, v79, v76
	v_add_f16_e32 v30, v82, v30
	v_fmamk_f16 v79, v26, 0x3a62, v121
	v_mul_f16_e32 v82, 0x31e1, v119
	v_fma_f16 v35, v122, 0xb8d2, -v35
	v_fmac_f16_e32 v121, 0xba62, v26
	v_add_f16_e32 v34, v34, v36
	v_add_f16_e32 v36, v79, v80
	v_fmamk_f16 v79, v122, 0xbbdd, v82
	v_mul_f16_e32 v80, 0xbbdd, v5
	v_add_f16_e32 v29, v35, v29
	v_add_f16_e32 v35, v121, v75
	v_mul_f16_e32 v75, 0x3bb2, v119
	v_add_f16_e32 v79, v79, v81
	v_fmamk_f16 v81, v26, 0xb1e1, v80
	v_fma_f16 v82, v122, 0xbbdd, -v82
	v_mul_f16_e32 v123, 0xb461, v5
	v_fmamk_f16 v121, v122, 0xb461, v75
	v_fmac_f16_e32 v80, 0x31e1, v26
	v_add_f16_e32 v81, v81, v93
	v_add_f16_e32 v78, v82, v78
	v_fmamk_f16 v93, v26, 0xbbb2, v123
	v_add_f16_e32 v82, v121, v98
	v_fma_f16 v75, v122, 0xb461, -v75
	v_fmac_f16_e32 v123, 0x3bb2, v26
	v_mul_f16_e32 v98, 0x39e9, v5
	v_add_f16_e32 v80, v80, v94
	v_mul_f16_e32 v94, 0x3964, v119
	v_add_f16_e32 v75, v75, v95
	v_add_f16_e32 v95, v123, v97
	v_fmamk_f16 v97, v26, 0xb964, v98
	v_add_f16_e32 v93, v93, v96
	v_fmamk_f16 v96, v122, 0x39e9, v94
	v_mul_f16_e32 v121, 0xb5c8, v119
	v_fma_f16 v94, v122, 0x39e9, -v94
	v_fmac_f16_e32 v98, 0x3964, v26
	v_add_f16_e32 v97, v97, v109
	v_mul_f16_e32 v109, 0x3b76, v5
	v_add_f16_e32 v96, v96, v100
	v_fmamk_f16 v100, v122, 0x3b76, v121
	v_add_f16_e32 v94, v94, v110
	v_add_f16_e32 v98, v98, v111
	v_mul_f16_e32 v110, 0xbbf7, v119
	v_fmamk_f16 v111, v26, 0x35c8, v109
	v_mul_f16_e32 v123, 0x2de8, v5
	v_add_f16_e32 v116, v126, v116
	v_add_f16_e32 v100, v100, v112
	v_fma_f16 v112, v122, 0x3b76, -v121
	v_fmac_f16_e32 v109, 0xb5c8, v26
	v_fmamk_f16 v121, v122, 0x2de8, v110
	v_add_f16_e32 v111, v111, v113
	v_fmamk_f16 v113, v26, 0x3bf7, v123
	v_mul_f16_e32 v5, 0xbacd, v5
	v_fma_f16 v110, v122, 0x2de8, -v110
	v_fmac_f16_e32 v123, 0xbbf7, v26
	v_add_f16_e32 v99, v112, v99
	v_add_f16_e32 v109, v109, v116
	;; [unrolled: 1-line block ×3, first 2 shown]
	v_mul_f16_e32 v116, 0xb836, v119
	v_fmamk_f16 v118, v26, 0x3836, v5
	v_add_f16_e32 v110, v110, v115
	v_add_f16_e32 v115, v123, v117
	v_sub_f16_e32 v117, v24, v4
	v_add_f16_e32 v4, v24, v4
	v_add_f16_e32 v113, v113, v114
	v_fmamk_f16 v114, v122, 0xbacd, v116
	v_add_f16_e32 v77, v118, v77
	v_add_f16_e32 v118, v23, v28
	v_mul_f16_e32 v24, 0xbbf7, v117
	v_fma_f16 v116, v122, 0xbacd, -v116
	v_fmac_f16_e32 v5, 0xb836, v26
	v_sub_f16_e32 v23, v23, v28
	v_mul_f16_e32 v26, 0x2de8, v4
	v_fmamk_f16 v28, v118, 0x2de8, v24
	v_add_f16_e32 v7, v116, v7
	v_add_f16_e32 v5, v5, v6
	v_mul_f16_e32 v6, 0xb1e1, v117
	v_fmamk_f16 v116, v23, 0x3bf7, v26
	v_add_f16_e32 v25, v28, v25
	v_fma_f16 v24, v118, 0x2de8, -v24
	v_fmac_f16_e32 v26, 0xbbf7, v23
	v_fmamk_f16 v28, v118, 0xbbdd, v6
	v_add_f16_e32 v27, v116, v27
	v_mul_f16_e32 v116, 0xbbdd, v4
	v_add_f16_e32 v24, v24, v76
	v_add_f16_e32 v26, v26, v30
	;; [unrolled: 1-line block ×3, first 2 shown]
	v_mul_f16_e32 v30, 0x3bb2, v117
	v_fmamk_f16 v34, v23, 0x31e1, v116
	v_fma_f16 v6, v118, 0xbbdd, -v6
	v_fmac_f16_e32 v116, 0xb1e1, v23
	v_mul_f16_e32 v76, 0xb461, v4
	v_fmamk_f16 v119, v118, 0xb461, v30
	v_add_f16_e32 v34, v34, v36
	v_add_f16_e32 v6, v6, v29
	;; [unrolled: 1-line block ×3, first 2 shown]
	v_fmamk_f16 v35, v23, 0xbbb2, v76
	v_add_f16_e32 v36, v119, v79
	v_mul_f16_e32 v79, 0x35c8, v117
	v_fma_f16 v30, v118, 0xb461, -v30
	v_fmac_f16_e32 v76, 0x3bb2, v23
	v_add_f16_e32 v35, v35, v81
	v_mul_f16_e32 v81, 0x3b76, v4
	v_fmamk_f16 v116, v118, 0x3b76, v79
	v_add_f16_e32 v30, v30, v78
	v_add_f16_e32 v76, v76, v80
	v_mul_f16_e32 v78, 0xbb29, v117
	v_fmamk_f16 v80, v23, 0xb5c8, v81
	v_add_f16_e32 v82, v116, v82
	v_fma_f16 v79, v118, 0x3b76, -v79
	v_fmac_f16_e32 v81, 0x35c8, v23
	v_fmamk_f16 v116, v118, 0x3722, v78
	v_add_f16_e32 v80, v80, v93
	v_mul_f16_e32 v93, 0x3722, v4
	v_add_f16_e32 v75, v79, v75
	v_add_f16_e32 v79, v81, v95
	;; [unrolled: 1-line block ×3, first 2 shown]
	v_mul_f16_e32 v95, 0xb836, v117
	v_fmamk_f16 v96, v23, 0x3b29, v93
	v_fma_f16 v78, v118, 0x3722, -v78
	v_fmac_f16_e32 v93, 0xbb29, v23
	v_mul_f16_e32 v116, 0xbacd, v4
	v_fmamk_f16 v119, v118, 0xbacd, v95
	v_fma_f16 v95, v118, 0xbacd, -v95
	v_add_f16_e32 v78, v78, v94
	v_add_f16_e32 v93, v93, v98
	v_fmamk_f16 v94, v23, 0x3836, v116
	v_mul_f16_e32 v98, 0x3a62, v117
	v_fmac_f16_e32 v116, 0xb836, v23
	v_add_f16_e32 v95, v95, v99
	v_add_f16_e32 v114, v114, v120
	;; [unrolled: 1-line block ×3, first 2 shown]
	v_fmamk_f16 v111, v118, 0xb8d2, v98
	v_add_f16_e32 v99, v116, v109
	v_mul_f16_e32 v109, 0x3964, v117
	v_add_f16_e32 v96, v96, v97
	v_add_f16_e32 v97, v119, v100
	v_mul_f16_e32 v100, 0xb8d2, v4
	v_add_f16_e32 v111, v111, v112
	v_fma_f16 v98, v118, 0xb8d2, -v98
	v_fmamk_f16 v112, v118, 0x39e9, v109
	v_mul_f16_e32 v4, 0x39e9, v4
	v_fmamk_f16 v116, v23, 0xba62, v100
	v_fmac_f16_e32 v100, 0x3a62, v23
	v_add_f16_e32 v98, v98, v110
	v_add_f16_e32 v110, v112, v114
	v_sub_f16_e32 v112, v21, v3
	v_add_f16_e32 v3, v21, v3
	v_add_f16_e32 v100, v100, v115
	v_fmamk_f16 v114, v23, 0xb964, v4
	v_fma_f16 v109, v118, 0x39e9, -v109
	v_add_f16_e32 v21, v20, v22
	v_mul_f16_e32 v115, 0xbbb2, v112
	v_fmac_f16_e32 v4, 0x3964, v23
	v_sub_f16_e32 v20, v20, v22
	v_mul_f16_e32 v22, 0xb461, v3
	v_add_f16_e32 v23, v114, v77
	v_fmamk_f16 v77, v21, 0xb461, v115
	v_add_f16_e32 v7, v109, v7
	v_add_f16_e32 v4, v4, v5
	v_fmamk_f16 v5, v20, 0x3bb2, v22
	v_mul_f16_e32 v109, 0x3836, v112
	v_fmac_f16_e32 v22, 0xbbb2, v20
	v_add_f16_e32 v25, v77, v25
	v_fma_f16 v77, v21, 0xb461, -v115
	v_add_f16_e32 v5, v5, v27
	v_fmamk_f16 v27, v21, 0xbacd, v109
	v_mul_f16_e32 v114, 0xbacd, v3
	v_add_f16_e32 v22, v22, v26
	v_mul_f16_e32 v26, 0x3964, v112
	v_add_f16_e32 v24, v77, v24
	v_add_f16_e32 v27, v27, v28
	v_fmamk_f16 v28, v20, 0xb836, v114
	v_fma_f16 v77, v21, 0xbacd, -v109
	v_fmamk_f16 v109, v21, 0x39e9, v26
	v_mul_f16_e32 v115, 0x39e9, v3
	v_fmac_f16_e32 v114, 0x3836, v20
	v_add_f16_e32 v28, v28, v34
	v_add_f16_e32 v6, v77, v6
	v_add_f16_e32 v34, v109, v36
	v_fmamk_f16 v36, v20, 0xb964, v115
	v_mul_f16_e32 v77, 0xbb29, v112
	v_fma_f16 v26, v21, 0x39e9, -v26
	v_fmac_f16_e32 v115, 0x3964, v20
	v_mul_f16_e32 v109, 0x3722, v3
	v_add_f16_e32 v29, v114, v29
	v_add_f16_e32 v35, v36, v35
	v_fmamk_f16 v36, v21, 0x3722, v77
	v_add_f16_e32 v26, v26, v30
	v_add_f16_e32 v30, v115, v76
	v_fmamk_f16 v76, v20, 0x3b29, v109
	v_mul_f16_e32 v114, 0xb1e1, v112
	v_fma_f16 v77, v21, 0x3722, -v77
	v_fmac_f16_e32 v109, 0xbb29, v20
	v_add_f16_e32 v36, v36, v82
	v_add_f16_e32 v76, v76, v80
	v_fmamk_f16 v80, v21, 0xbbdd, v114
	v_mul_f16_e32 v82, 0xbbdd, v3
	v_add_f16_e32 v75, v77, v75
	v_add_f16_e32 v77, v109, v79
	v_mul_f16_e32 v79, 0x3bf7, v112
	v_add_f16_e32 v80, v80, v81
	v_fmamk_f16 v81, v20, 0x31e1, v82
	v_fma_f16 v109, v21, 0xbbdd, -v114
	v_fmac_f16_e32 v82, 0xb1e1, v20
	v_fmamk_f16 v114, v21, 0x2de8, v79
	v_mul_f16_e32 v115, 0x2de8, v3
	v_add_f16_e32 v81, v81, v96
	v_add_f16_e32 v78, v109, v78
	;; [unrolled: 1-line block ×4, first 2 shown]
	v_fmamk_f16 v96, v20, 0xbbf7, v115
	v_mul_f16_e32 v97, 0xb5c8, v112
	v_fma_f16 v79, v21, 0x2de8, -v79
	v_mul_f16_e32 v109, 0x3b76, v3
	v_mul_f16_e32 v112, 0xba62, v112
	v_add_f16_e32 v94, v96, v94
	v_fmamk_f16 v96, v21, 0x3b76, v97
	v_fma_f16 v97, v21, 0x3b76, -v97
	v_add_f16_e32 v113, v116, v113
	v_add_f16_e32 v79, v79, v95
	v_fmamk_f16 v95, v20, 0x35c8, v109
	v_add_f16_e32 v96, v96, v111
	v_fmac_f16_e32 v109, 0xb5c8, v20
	v_fmamk_f16 v111, v21, 0xb8d2, v112
	v_add_f16_e32 v97, v97, v98
	v_sub_f16_e32 v98, v18, v2
	v_add_f16_e32 v95, v95, v113
	v_mul_f16_e32 v3, 0xb8d2, v3
	v_add_f16_e32 v100, v109, v100
	v_add_f16_e32 v109, v111, v110
	v_add_f16_e32 v111, v17, v19
	v_mul_f16_e32 v113, 0xba62, v98
	v_add_f16_e32 v2, v18, v2
	v_fmac_f16_e32 v115, 0x3bf7, v20
	v_fmamk_f16 v110, v20, 0x3a62, v3
	v_fma_f16 v18, v21, 0xb8d2, -v112
	v_fmac_f16_e32 v3, 0xba62, v20
	v_sub_f16_e32 v17, v17, v19
	v_fmamk_f16 v19, v111, 0xb8d2, v113
	v_mul_f16_e32 v20, 0xb8d2, v2
	v_add_f16_e32 v21, v110, v23
	v_add_f16_e32 v7, v18, v7
	;; [unrolled: 1-line block ×4, first 2 shown]
	v_fmamk_f16 v18, v17, 0x3a62, v20
	v_mul_f16_e32 v19, 0x3bb2, v98
	v_fma_f16 v23, v111, 0xb8d2, -v113
	v_fmac_f16_e32 v20, 0xba62, v17
	v_mul_f16_e32 v25, 0xb461, v2
	v_add_f16_e32 v5, v18, v5
	v_fmamk_f16 v18, v111, 0xb461, v19
	v_add_f16_e32 v23, v23, v24
	v_add_f16_e32 v20, v20, v22
	v_fmamk_f16 v22, v17, 0xbbb2, v25
	v_mul_f16_e32 v24, 0xb5c8, v98
	v_fma_f16 v19, v111, 0xb461, -v19
	v_fmac_f16_e32 v25, 0x3bb2, v17
	v_add_f16_e32 v18, v18, v27
	v_add_f16_e32 v22, v22, v28
	v_fmamk_f16 v27, v111, 0x3b76, v24
	v_mul_f16_e32 v28, 0x3b76, v2
	v_add_f16_e32 v6, v19, v6
	v_add_f16_e32 v19, v25, v29
	v_mul_f16_e32 v25, 0xb836, v98
	v_add_f16_e32 v27, v27, v34
	v_fmamk_f16 v29, v17, 0x35c8, v28
	v_fma_f16 v24, v111, 0x3b76, -v24
	v_fmac_f16_e32 v28, 0xb5c8, v17
	v_fmamk_f16 v34, v111, 0xbacd, v25
	v_mul_f16_e32 v110, 0xbacd, v2
	v_add_f16_e32 v29, v29, v35
	v_add_f16_e32 v24, v24, v26
	;; [unrolled: 1-line block ×4, first 2 shown]
	v_fmamk_f16 v30, v17, 0x3836, v110
	v_mul_f16_e32 v34, 0x3bf7, v98
	v_fma_f16 v25, v111, 0xbacd, -v25
	v_fmac_f16_e32 v110, 0xb836, v17
	v_mul_f16_e32 v35, 0x2de8, v2
	v_add_f16_e32 v30, v30, v76
	v_fmamk_f16 v36, v111, 0x2de8, v34
	v_add_f16_e32 v25, v25, v75
	v_add_f16_e32 v75, v110, v77
	v_fmamk_f16 v76, v17, 0xbbf7, v35
	v_mul_f16_e32 v77, 0xb964, v98
	v_fma_f16 v34, v111, 0x2de8, -v34
	v_add_f16_e32 v36, v36, v80
	v_fmac_f16_e32 v35, 0x3bf7, v17
	v_add_f16_e32 v76, v76, v81
	v_fmamk_f16 v80, v111, 0x39e9, v77
	v_mul_f16_e32 v81, 0x39e9, v2
	v_add_f16_e32 v34, v34, v78
	v_mul_f16_e32 v78, 0xb1e1, v98
	v_add_f16_e32 v99, v115, v99
	v_add_f16_e32 v35, v35, v82
	;; [unrolled: 1-line block ×3, first 2 shown]
	v_fmamk_f16 v82, v17, 0x3964, v81
	v_fma_f16 v77, v111, 0x39e9, -v77
	v_fmac_f16_e32 v81, 0xb964, v17
	v_fmamk_f16 v93, v111, 0xbbdd, v78
	v_mul_f16_e32 v110, 0xbbdd, v2
	v_mul_f16_e32 v2, 0x3722, v2
	v_add_f16_e32 v82, v82, v94
	v_add_f16_e32 v77, v77, v79
	;; [unrolled: 1-line block ×4, first 2 shown]
	v_mul_f16_e32 v94, 0x3b29, v98
	v_fmamk_f16 v96, v17, 0xbb29, v2
	v_sub_f16_e32 v98, v13, v15
	v_fmamk_f16 v93, v17, 0x31e1, v110
	v_add_f16_e32 v13, v13, v15
	v_fmac_f16_e32 v2, 0x3b29, v17
	v_add_f16_e32 v21, v96, v21
	v_add_f16_e32 v96, v12, v14
	v_mul_f16_e32 v15, 0xb836, v98
	v_fmac_f16_e32 v110, 0xb1e1, v17
	v_add_f16_e32 v93, v93, v95
	v_fmamk_f16 v95, v111, 0x3722, v94
	v_fma_f16 v94, v111, 0x3722, -v94
	v_sub_f16_e32 v12, v12, v14
	v_mul_f16_e32 v14, 0xbacd, v13
	v_fmamk_f16 v17, v96, 0xbacd, v15
	v_add_f16_e32 v2, v2, v3
	v_mul_f16_e32 v3, 0x3b29, v98
	v_add_f16_e32 v7, v94, v7
	v_fmamk_f16 v94, v12, 0x3836, v14
	v_add_f16_e32 v4, v17, v4
	v_fmac_f16_e32 v14, 0xb836, v12
	v_fmamk_f16 v17, v96, 0x3722, v3
	v_fma_f16 v15, v96, 0xbacd, -v15
	v_add_f16_e32 v5, v94, v5
	v_mul_f16_e32 v94, 0x3722, v13
	v_add_f16_e32 v14, v14, v20
	v_add_f16_e32 v20, v17, v18
	v_mul_f16_e32 v17, 0xbbf7, v98
	v_add_f16_e32 v15, v15, v23
	v_fmamk_f16 v18, v12, 0xbb29, v94
	v_fma_f16 v3, v96, 0x3722, -v3
	v_fmac_f16_e32 v94, 0x3b29, v12
	v_mul_f16_e32 v23, 0x2de8, v13
	v_fmamk_f16 v99, v96, 0x2de8, v17
	v_add_f16_e32 v22, v18, v22
	v_add_f16_e32 v3, v3, v6
	;; [unrolled: 1-line block ×3, first 2 shown]
	v_fmamk_f16 v18, v12, 0x3bf7, v23
	v_add_f16_e32 v19, v99, v27
	v_mul_f16_e32 v27, 0x3a62, v98
	v_fma_f16 v17, v96, 0x2de8, -v17
	v_fmac_f16_e32 v23, 0xbbf7, v12
	v_add_f16_e32 v29, v18, v29
	v_mul_f16_e32 v18, 0xb8d2, v13
	v_fmamk_f16 v94, v96, 0xb8d2, v27
	v_add_f16_e32 v24, v17, v24
	v_mul_f16_e32 v17, 0xb5c8, v98
	v_add_f16_e32 v23, v23, v26
	v_fmamk_f16 v26, v12, 0xba62, v18
	v_add_f16_e32 v28, v94, v28
	v_fma_f16 v27, v96, 0xb8d2, -v27
	v_fmac_f16_e32 v18, 0x3a62, v12
	v_fmamk_f16 v94, v96, 0x3b76, v17
	v_add_f16_e32 v26, v26, v30
	v_mul_f16_e32 v30, 0x3b76, v13
	v_add_f16_e32 v25, v27, v25
	v_add_f16_e32 v27, v18, v75
	;; [unrolled: 1-line block ×3, first 2 shown]
	v_mul_f16_e32 v18, 0xb1e1, v98
	v_fma_f16 v17, v96, 0x3b76, -v17
	v_mul_f16_e32 v94, 0xbbdd, v13
	v_fmamk_f16 v75, v12, 0x35c8, v30
	v_fmac_f16_e32 v30, 0xb5c8, v12
	v_fmamk_f16 v99, v96, 0xbbdd, v18
	v_add_f16_e32 v34, v17, v34
	v_fmamk_f16 v17, v12, 0x31e1, v94
	v_add_f16_e32 v75, v75, v76
	v_add_f16_e32 v30, v30, v35
	;; [unrolled: 1-line block ×3, first 2 shown]
	v_mul_f16_e32 v76, 0x3964, v98
	v_fma_f16 v18, v96, 0xbbdd, -v18
	v_fmac_f16_e32 v94, 0xb1e1, v12
	v_add_f16_e32 v80, v17, v82
	v_mul_f16_e32 v17, 0x39e9, v13
	v_fma_f16 v78, v111, 0xbbdd, -v78
	v_fmamk_f16 v82, v96, 0x39e9, v76
	v_add_f16_e32 v77, v18, v77
	v_add_f16_e32 v79, v94, v79
	v_mul_f16_e32 v18, 0xbbb2, v98
	v_fmamk_f16 v94, v12, 0xb964, v17
	v_add_f16_e32 v78, v78, v97
	v_add_f16_e32 v97, v110, v100
	;; [unrolled: 1-line block ×4, first 2 shown]
	v_fma_f16 v76, v96, 0x39e9, -v76
	v_fmac_f16_e32 v17, 0x3964, v12
	v_fmamk_f16 v82, v96, 0xb461, v18
	v_add_f16_e32 v93, v94, v93
	v_mul_f16_e32 v13, 0xb461, v13
	v_sub_f16_e32 v94, v10, v11
	v_add_f16_e32 v10, v10, v11
	v_add_f16_e32 v76, v76, v78
	v_add_f16_e32 v78, v17, v97
	v_add_f16_e32 v82, v82, v95
	v_fmamk_f16 v17, v12, 0x3bb2, v13
	v_add_f16_e32 v11, v8, v9
	v_mul_f16_e32 v95, 0xb1e1, v94
	v_fmac_f16_e32 v13, 0xbbb2, v12
	v_sub_f16_e32 v8, v8, v9
	v_mul_f16_e32 v9, 0xbbdd, v10
	v_fma_f16 v18, v96, 0xb461, -v18
	v_add_f16_e32 v12, v17, v21
	v_fmamk_f16 v17, v11, 0xbbdd, v95
	v_add_f16_e32 v2, v13, v2
	v_fmamk_f16 v13, v8, 0x31e1, v9
	v_mul_f16_e32 v21, 0x35c8, v94
	v_fmac_f16_e32 v9, 0xb1e1, v8
	v_add_f16_e32 v7, v18, v7
	v_add_f16_e32 v4, v17, v4
	v_fma_f16 v17, v11, 0xbbdd, -v95
	v_add_f16_e32 v5, v13, v5
	v_fmamk_f16 v13, v11, 0x3b76, v21
	v_mul_f16_e32 v95, 0x3b76, v10
	v_add_f16_e32 v18, v9, v14
	v_mul_f16_e32 v9, 0xb836, v94
	v_add_f16_e32 v17, v17, v15
	v_add_f16_e32 v13, v13, v20
	v_fmamk_f16 v14, v8, 0xb5c8, v95
	v_fma_f16 v15, v11, 0x3b76, -v21
	v_fmamk_f16 v20, v11, 0xbacd, v9
	v_mul_f16_e32 v21, 0xbacd, v10
	v_fma_f16 v9, v11, 0xbacd, -v9
	v_add_f16_e32 v14, v14, v22
	v_add_f16_e32 v3, v15, v3
	;; [unrolled: 1-line block ×3, first 2 shown]
	v_fmamk_f16 v19, v8, 0x3836, v21
	v_mul_f16_e32 v20, 0x3964, v94
	v_fmac_f16_e32 v21, 0xb836, v8
	v_mul_f16_e32 v22, 0x39e9, v10
	v_add_f16_e32 v9, v9, v24
	v_add_f16_e32 v19, v19, v29
	v_fmamk_f16 v29, v11, 0x39e9, v20
	v_add_f16_e32 v21, v21, v23
	v_fmamk_f16 v23, v8, 0xb964, v22
	v_mul_f16_e32 v24, 0xba62, v94
	v_fma_f16 v20, v11, 0x39e9, -v20
	v_fmac_f16_e32 v95, 0x35c8, v8
	v_add_f16_e32 v28, v29, v28
	v_fmac_f16_e32 v22, 0x3964, v8
	v_add_f16_e32 v23, v23, v26
	v_fmamk_f16 v26, v11, 0xb8d2, v24
	v_mul_f16_e32 v29, 0xb8d2, v10
	v_add_f16_e32 v20, v20, v25
	v_mul_f16_e32 v25, 0x3b29, v94
	v_add_f16_e32 v6, v95, v6
	v_add_f16_e32 v22, v22, v27
	;; [unrolled: 1-line block ×3, first 2 shown]
	v_fmamk_f16 v27, v8, 0x3a62, v29
	v_fma_f16 v24, v11, 0xb8d2, -v24
	v_fmac_f16_e32 v29, 0xba62, v8
	v_fmamk_f16 v36, v11, 0x3722, v25
	v_mul_f16_e32 v95, 0x3722, v10
	v_fma_f16 v25, v11, 0x3722, -v25
	v_add_f16_e32 v24, v24, v34
	v_add_f16_e32 v29, v29, v30
	;; [unrolled: 1-line block ×3, first 2 shown]
	v_fmamk_f16 v34, v8, 0xbb29, v95
	v_mul_f16_e32 v35, 0xbbb2, v94
	v_fmac_f16_e32 v95, 0x3b29, v8
	v_mul_f16_e32 v36, 0xb461, v10
	v_add_f16_e32 v27, v27, v75
	v_add_f16_e32 v34, v34, v80
	v_fmamk_f16 v75, v11, 0xb461, v35
	v_fma_f16 v35, v11, 0xb461, -v35
	v_mul_f16_e32 v80, 0x3bf7, v94
	v_mul_f16_e32 v10, 0x2de8, v10
	v_add_f16_e32 v25, v25, v77
	v_add_f16_e32 v77, v95, v79
	v_fmamk_f16 v79, v8, 0x3bb2, v36
	v_add_f16_e32 v75, v75, v81
	v_add_f16_e32 v35, v35, v76
	v_fmac_f16_e32 v36, 0xbbb2, v8
	v_fmamk_f16 v76, v11, 0x2de8, v80
	v_fmamk_f16 v81, v8, 0xbbf7, v10
	v_fma_f16 v11, v11, 0x2de8, -v80
	v_fmac_f16_e32 v10, 0x3bf7, v8
	v_add_f16_e32 v79, v79, v93
	v_add_f16_e32 v8, v36, v78
	;; [unrolled: 1-line block ×6, first 2 shown]
	v_pack_b32_f16 v0, v0, v1
	v_pack_b32_f16 v1, v4, v5
	;; [unrolled: 1-line block ×8, first 2 shown]
	ds_store_2addr_b32 v83, v0, v1 offset1:17
	ds_store_2addr_b32 v83, v4, v5 offset0:34 offset1:51
	ds_store_2addr_b32 v83, v10, v11 offset0:68 offset1:85
	;; [unrolled: 1-line block ×3, first 2 shown]
	v_pack_b32_f16 v0, v36, v12
	v_pack_b32_f16 v1, v7, v2
	;; [unrolled: 1-line block ×9, first 2 shown]
	ds_store_2addr_b32 v83, v0, v1 offset0:136 offset1:153
	ds_store_2addr_b32 v83, v2, v4 offset0:170 offset1:187
	;; [unrolled: 1-line block ×4, first 2 shown]
	ds_store_b32 v83, v6 offset:1088
	v_add_nc_u32_e32 v8, 0x600, v40
	global_wb scope:SCOPE_SE
	s_wait_dscnt 0x0
	s_barrier_signal -1
	s_barrier_wait -1
	global_inv scope:SCOPE_SE
	ds_load_2addr_b32 v[6:7], v40 offset1:34
	ds_load_2addr_b32 v[14:15], v33 offset0:33 offset1:67
	ds_load_2addr_b32 v[4:5], v40 offset0:68 offset1:102
	;; [unrolled: 1-line block ×7, first 2 shown]
	v_add_nc_u32_e32 v19, 0x330, v40
	v_add_nc_u32_e32 v20, 0x3b8, v40
	s_and_saveexec_b32 s0, vcc_lo
	s_cbranch_execz .LBB0_7
; %bb.6:
	ds_load_b32 v17, v40 offset:1088
	ds_load_b32 v31, v40 offset:2244
	s_wait_dscnt 0x1
	v_lshrrev_b32_e32 v18, 16, v17
	s_wait_dscnt 0x0
	v_lshrrev_b32_e32 v32, 16, v31
.LBB0_7:
	s_wait_alu 0xfffe
	s_or_b32 exec_lo, exec_lo, s0
	s_wait_dscnt 0x6
	v_lshrrev_b32_e32 v22, 16, v14
	v_lshrrev_b32_e32 v24, 16, v15
	s_wait_dscnt 0x4
	v_lshrrev_b32_e32 v26, 16, v12
	v_lshrrev_b32_e32 v28, 16, v13
	s_wait_dscnt 0x2
	v_lshrrev_b32_e32 v34, 16, v11
	v_mul_f16_e32 v36, v108, v22
	v_mul_f16_e32 v76, v108, v14
	;; [unrolled: 1-line block ×4, first 2 shown]
	v_lshrrev_b32_e32 v30, 16, v10
	v_fmac_f16_e32 v36, v89, v14
	v_mul_f16_e32 v14, v107, v24
	s_wait_dscnt 0x0
	v_lshrrev_b32_e32 v75, 16, v8
	v_fma_f16 v22, v89, v22, -v76
	v_mul_f16_e32 v76, v107, v15
	v_fmac_f16_e32 v79, v90, v12
	v_fmac_f16_e32 v14, v84, v15
	v_mul_f16_e32 v15, v105, v28
	v_fma_f16 v12, v90, v26, -v80
	v_mul_f16_e32 v26, v105, v13
	v_mul_f16_e32 v80, v103, v34
	v_lshrrev_b32_e32 v21, 16, v6
	v_fma_f16 v24, v84, v24, -v76
	v_fmac_f16_e32 v15, v85, v13
	v_mul_f16_e32 v13, v104, v30
	v_mul_f16_e32 v76, v104, v10
	v_fma_f16 v26, v85, v28, -v26
	v_mul_f16_e32 v28, v103, v11
	v_fmac_f16_e32 v80, v91, v11
	v_mul_f16_e32 v11, v102, v75
	v_lshrrev_b32_e32 v23, 16, v7
	v_lshrrev_b32_e32 v78, 16, v9
	;; [unrolled: 1-line block ×3, first 2 shown]
	v_fmac_f16_e32 v13, v87, v10
	v_fma_f16 v10, v87, v30, -v76
	v_mul_f16_e32 v30, v102, v8
	v_fmac_f16_e32 v11, v86, v8
	v_sub_f16_e32 v8, v6, v36
	v_sub_f16_e32 v22, v21, v22
	v_lshrrev_b32_e32 v27, 16, v5
	v_fma_f16 v28, v91, v34, -v28
	v_mul_f16_e32 v34, v101, v78
	v_mul_f16_e32 v76, v101, v9
	v_sub_f16_e32 v14, v7, v14
	v_sub_f16_e32 v24, v23, v24
	v_lshrrev_b32_e32 v29, 16, v2
	v_sub_f16_e32 v36, v4, v79
	v_sub_f16_e32 v12, v25, v12
	v_lshrrev_b32_e32 v33, 16, v3
	v_fma_f16 v6, v6, 2.0, -v8
	v_fma_f16 v21, v21, 2.0, -v22
	v_sub_f16_e32 v15, v5, v15
	v_sub_f16_e32 v26, v27, v26
	v_lshrrev_b32_e32 v35, 16, v0
	v_lshrrev_b32_e32 v77, 16, v1
	v_fma_f16 v30, v86, v75, -v30
	v_fmac_f16_e32 v34, v92, v9
	v_fma_f16 v9, v92, v78, -v76
	v_fma_f16 v7, v7, 2.0, -v14
	v_fma_f16 v23, v23, 2.0, -v24
	v_sub_f16_e32 v13, v2, v13
	v_sub_f16_e32 v10, v29, v10
	v_fma_f16 v4, v4, 2.0, -v36
	v_fma_f16 v25, v25, 2.0, -v12
	v_sub_f16_e32 v75, v3, v80
	v_sub_f16_e32 v28, v33, v28
	v_pack_b32_f16 v6, v6, v21
	v_fma_f16 v5, v5, 2.0, -v15
	v_fma_f16 v27, v27, 2.0, -v26
	v_pack_b32_f16 v8, v8, v22
	v_sub_f16_e32 v11, v0, v11
	v_sub_f16_e32 v30, v35, v30
	;; [unrolled: 1-line block ×4, first 2 shown]
	v_pack_b32_f16 v7, v7, v23
	v_fma_f16 v2, v2, 2.0, -v13
	v_fma_f16 v29, v29, 2.0, -v10
	v_pack_b32_f16 v14, v14, v24
	v_pack_b32_f16 v4, v4, v25
	v_fma_f16 v3, v3, 2.0, -v75
	v_fma_f16 v33, v33, 2.0, -v28
	ds_store_b32 v40, v6
	ds_store_b32 v74, v8 offset:1156
	ds_store_b32 v40, v7 offset:136
	;; [unrolled: 1-line block ×4, first 2 shown]
	v_pack_b32_f16 v4, v36, v12
	v_pack_b32_f16 v5, v5, v27
	v_fma_f16 v0, v0, 2.0, -v11
	v_fma_f16 v35, v35, 2.0, -v30
	;; [unrolled: 1-line block ×4, first 2 shown]
	v_pack_b32_f16 v6, v15, v26
	v_pack_b32_f16 v2, v2, v29
	;; [unrolled: 1-line block ×3, first 2 shown]
	ds_store_b32 v74, v4 offset:1428
	ds_store_b32 v40, v5 offset:408
	;; [unrolled: 1-line block ×5, first 2 shown]
	v_pack_b32_f16 v2, v3, v33
	v_pack_b32_f16 v3, v75, v28
	;; [unrolled: 1-line block ×6, first 2 shown]
	ds_store_b32 v40, v2 offset:680
	ds_store_b32 v74, v3 offset:1836
	ds_store_2addr_b32 v40, v0, v1 offset0:204 offset1:238
	ds_store_b32 v19, v4 offset:1156
	ds_store_b32 v20, v5 offset:1156
	s_and_saveexec_b32 s0, vcc_lo
	s_cbranch_execz .LBB0_9
; %bb.8:
	v_mul_f16_e32 v0, v88, v32
	v_mul_f16_e32 v1, v88, v31
	s_delay_alu instid0(VALU_DEP_2) | instskip(NEXT) | instid1(VALU_DEP_2)
	v_fmac_f16_e32 v0, v73, v31
	v_fma_f16 v1, v73, v32, -v1
	s_delay_alu instid0(VALU_DEP_2) | instskip(NEXT) | instid1(VALU_DEP_2)
	v_sub_f16_e32 v0, v17, v0
	v_sub_f16_e32 v1, v18, v1
	s_delay_alu instid0(VALU_DEP_2) | instskip(NEXT) | instid1(VALU_DEP_2)
	v_fma_f16 v2, v17, 2.0, -v0
	v_fma_f16 v3, v18, 2.0, -v1
	v_pack_b32_f16 v0, v0, v1
	s_delay_alu instid0(VALU_DEP_2)
	v_pack_b32_f16 v2, v2, v3
	ds_store_b32 v40, v2 offset:1088
	ds_store_b32 v74, v0 offset:2244
.LBB0_9:
	s_wait_alu 0xfffe
	s_or_b32 exec_lo, exec_lo, s0
	global_wb scope:SCOPE_SE
	s_wait_dscnt 0x0
	s_barrier_signal -1
	s_barrier_wait -1
	global_inv scope:SCOPE_SE
	ds_load_2addr_b32 v[0:1], v40 offset1:34
	ds_load_2addr_b32 v[2:3], v40 offset0:68 offset1:102
	s_mov_b32 s8, 0xd10d4986
	s_mov_b32 s9, 0x3f5c5894
	v_mad_co_u64_u32 v[17:18], null, s4, v64, 0
	s_wait_dscnt 0x1
	v_lshrrev_b32_e32 v4, 16, v0
	v_mul_f16_e32 v5, v72, v0
	v_lshrrev_b32_e32 v6, 16, v1
	v_mul_f16_e32 v7, v71, v1
	s_wait_dscnt 0x0
	v_lshrrev_b32_e32 v12, 16, v2
	v_mul_f16_e32 v8, v72, v4
	v_fma_f16 v5, v69, v4, -v5
	v_mul_f16_e32 v9, v71, v6
	v_fma_f16 v4, v68, v6, -v7
	v_mul_f16_e32 v10, v70, v12
	v_fmac_f16_e32 v8, v69, v0
	v_cvt_f32_f16_e32 v5, v5
	v_fmac_f16_e32 v9, v68, v1
	v_cvt_f32_f16_e32 v0, v4
	;; [unrolled: 2-line block ×3, first 2 shown]
	v_cvt_f64_f32_e32 v[4:5], v5
	v_mul_f16_e32 v2, v70, v2
	v_cvt_f64_f32_e32 v[6:7], v0
	v_cvt_f32_f16_e32 v10, v10
	v_cvt_f64_f32_e32 v[0:1], v8
	v_cvt_f32_f16_e32 v8, v9
	v_fma_f16 v2, v67, v12, -v2
	v_mad_co_u64_u32 v[12:13], null, s6, v16, 0
	v_cvt_f64_f32_e32 v[10:11], v10
	s_delay_alu instid0(VALU_DEP_4) | instskip(NEXT) | instid1(VALU_DEP_4)
	v_cvt_f64_f32_e32 v[8:9], v8
	v_cvt_f32_f16_e32 v2, v2
	s_delay_alu instid0(VALU_DEP_1) | instskip(SKIP_1) | instid1(VALU_DEP_1)
	v_cvt_f64_f32_e32 v[14:15], v2
	v_dual_mov_b32 v2, v13 :: v_dual_mov_b32 v13, v18
	v_mad_co_u64_u32 v[18:19], null, s7, v16, v[2:3]
	v_lshrrev_b32_e32 v2, 16, v3
	s_wait_alu 0xfffe
	v_mul_f64_e32 v[4:5], s[8:9], v[4:5]
	v_mul_f64_e32 v[6:7], s[8:9], v[6:7]
	;; [unrolled: 1-line block ×5, first 2 shown]
	v_mad_co_u64_u32 v[19:20], null, s5, v64, v[13:14]
	v_mov_b32_e32 v13, v18
	v_mul_f16_e32 v20, v66, v2
	v_mul_f64_e32 v[14:15], s[8:9], v[14:15]
	s_delay_alu instid0(VALU_DEP_4) | instskip(NEXT) | instid1(VALU_DEP_4)
	v_mov_b32_e32 v18, v19
	v_lshlrev_b64_e32 v[12:13], 2, v[12:13]
	s_delay_alu instid0(VALU_DEP_4) | instskip(SKIP_1) | instid1(VALU_DEP_4)
	v_fmac_f16_e32 v20, v63, v3
	v_mul_f16_e32 v3, v66, v3
	v_lshlrev_b64_e32 v[16:17], 2, v[17:18]
	s_delay_alu instid0(VALU_DEP_4) | instskip(NEXT) | instid1(VALU_DEP_4)
	v_add_co_u32 v19, vcc_lo, s2, v12
	v_cvt_f32_f16_e32 v18, v20
	s_wait_alu 0xfffd
	v_add_co_ci_u32_e32 v20, vcc_lo, s3, v13, vcc_lo
	v_and_or_b32 v4, 0x1ff, v5, v4
	s_delay_alu instid0(VALU_DEP_3)
	v_cvt_f64_f32_e32 v[12:13], v18
	v_and_or_b32 v6, 0x1ff, v7, v6
	v_lshrrev_b32_e32 v18, 8, v5
	v_and_or_b32 v0, 0x1ff, v1, v0
	v_cmp_ne_u32_e32 vcc_lo, 0, v4
	v_bfe_u32 v21, v5, 20, 11
	v_bfe_u32 v25, v1, 20, 11
	v_lshrrev_b32_e32 v22, 8, v7
	v_and_or_b32 v10, 0x1ff, v11, v10
	s_wait_alu 0xfffd
	v_cndmask_b32_e64 v4, 0, 1, vcc_lo
	v_cmp_ne_u32_e32 vcc_lo, 0, v6
	v_and_or_b32 v8, 0x1ff, v9, v8
	v_bfe_u32 v23, v7, 20, 11
	v_lshrrev_b32_e32 v24, 8, v1
	v_sub_nc_u32_e32 v26, 0x3f1, v21
	s_wait_alu 0xfffd
	v_cndmask_b32_e64 v6, 0, 1, vcc_lo
	v_cmp_ne_u32_e32 vcc_lo, 0, v0
	v_sub_nc_u32_e32 v32, 0x3f1, v25
	v_and_or_b32 v4, 0xffe, v18, v4
	v_add_nc_u32_e32 v21, 0xfffffc10, v21
	v_lshrrev_b32_e32 v27, 8, v9
	s_wait_alu 0xfffd
	v_cndmask_b32_e64 v0, 0, 1, vcc_lo
	v_cmp_ne_u32_e32 vcc_lo, 0, v8
	v_sub_nc_u32_e32 v29, 0x3f1, v23
	v_med3_i32 v18, v26, 0, 13
	v_and_or_b32 v6, 0xffe, v22, v6
	v_and_or_b32 v0, 0xffe, v24, v0
	s_wait_alu 0xfffd
	v_cndmask_b32_e64 v8, 0, 1, vcc_lo
	v_cmp_ne_u32_e32 vcc_lo, 0, v10
	v_med3_i32 v24, v32, 0, 13
	v_or_b32_e32 v32, 0x1000, v4
	v_bfe_u32 v28, v9, 20, 11
	v_lshrrev_b32_e32 v30, 8, v11
	s_wait_alu 0xfffd
	v_cndmask_b32_e64 v10, 0, 1, vcc_lo
	v_cmp_ne_u32_e32 vcc_lo, 0, v4
	v_add_nc_u32_e32 v25, 0xfffffc10, v25
	v_med3_i32 v22, v29, 0, 13
	v_lshl_or_b32 v33, v21, 12, v4
	v_and_or_b32 v8, 0xffe, v27, v8
	s_wait_alu 0xfffd
	v_cndmask_b32_e64 v4, 0, 1, vcc_lo
	v_or_b32_e32 v27, 0x1000, v6
	v_cmp_ne_u32_e32 vcc_lo, 0, v0
	v_lshrrev_b32_e32 v36, v18, v32
	v_sub_nc_u32_e32 v26, 0x3f1, v28
	v_add_nc_u32_e32 v28, 0xfffffc10, v28
	v_and_or_b32 v10, 0xffe, v30, v10
	v_or_b32_e32 v30, 0x1000, v0
	v_lshl_or_b32 v35, v25, 12, v0
	s_wait_alu 0xfffd
	v_cndmask_b32_e64 v0, 0, 1, vcc_lo
	v_cmp_ne_u32_e32 vcc_lo, 0, v8
	v_lshrrev_b32_e32 v68, v22, v27
	v_lshlrev_b32_e32 v18, v18, v36
	v_med3_i32 v26, v26, 0, 13
	v_or_b32_e32 v64, 0x1000, v8
	v_lshl_or_b32 v67, v28, 12, v8
	s_wait_alu 0xfffd
	v_cndmask_b32_e64 v8, 0, 1, vcc_lo
	v_lshrrev_b32_e32 v70, v24, v30
	v_lshlrev_b32_e32 v22, v22, v68
	v_cmp_ne_u32_e32 vcc_lo, v18, v32
	v_lshrrev_b32_e32 v71, v26, v64
	v_lshl_or_b32 v4, v4, 9, 0x7c00
	v_lshlrev_b32_e32 v24, v24, v70
	v_lshl_or_b32 v0, v0, 9, 0x7c00
	s_wait_alu 0xfffd
	v_cndmask_b32_e64 v18, 0, 1, vcc_lo
	v_cmp_ne_u32_e32 vcc_lo, v22, v27
	v_lshlrev_b32_e32 v26, v26, v71
	v_lshrrev_b32_e32 v1, 16, v1
	v_lshrrev_b32_e32 v5, 16, v5
	v_or_b32_e32 v18, v36, v18
	s_wait_alu 0xfffd
	v_cndmask_b32_e64 v22, 0, 1, vcc_lo
	v_cmp_ne_u32_e32 vcc_lo, v24, v30
	v_bfe_u32 v31, v11, 20, 11
	v_lshl_or_b32 v8, v8, 9, 0x7c00
	v_or_b32_e32 v69, 0x1000, v10
	v_or_b32_e32 v22, v68, v22
	s_wait_alu 0xfffd
	v_cndmask_b32_e64 v24, 0, 1, vcc_lo
	v_cmp_ne_u32_e32 vcc_lo, v26, v64
	v_sub_nc_u32_e32 v29, 0x3f1, v31
	v_lshrrev_b32_e32 v11, 16, v11
	s_delay_alu instid0(VALU_DEP_4) | instskip(SKIP_3) | instid1(VALU_DEP_2)
	v_or_b32_e32 v24, v70, v24
	s_wait_alu 0xfffd
	v_cndmask_b32_e64 v26, 0, 1, vcc_lo
	v_cmp_gt_i32_e32 vcc_lo, 1, v21
	v_or_b32_e32 v26, v71, v26
	s_wait_alu 0xfffd
	v_cndmask_b32_e32 v18, v33, v18, vcc_lo
	v_cmp_gt_i32_e32 vcc_lo, 1, v25
	v_add_nc_u32_e32 v23, 0xfffffc10, v23
	s_wait_alu 0xfffd
	s_delay_alu instid0(VALU_DEP_3) | instskip(NEXT) | instid1(VALU_DEP_2)
	v_dual_cndmask_b32 v24, v35, v24 :: v_dual_and_b32 v27, 7, v18
	v_lshl_or_b32 v34, v23, 12, v6
	v_cmp_gt_i32_e32 vcc_lo, 1, v23
	v_lshrrev_b32_e32 v18, 2, v18
	s_delay_alu instid0(VALU_DEP_4)
	v_cmp_lt_i32_e64 s1, 5, v27
	v_and_b32_e32 v30, 7, v24
	v_lshrrev_b32_e32 v24, 2, v24
	s_wait_alu 0xfffd
	v_cndmask_b32_e32 v22, v34, v22, vcc_lo
	v_cmp_gt_i32_e32 vcc_lo, 1, v28
	v_cmp_eq_u32_e64 s2, 3, v27
	v_cmp_eq_u32_e64 s0, 3, v30
	s_delay_alu instid0(VALU_DEP_4) | instskip(SKIP_3) | instid1(VALU_DEP_2)
	v_and_b32_e32 v32, 7, v22
	s_wait_alu 0xfffd
	v_cndmask_b32_e32 v26, v67, v26, vcc_lo
	v_cmp_lt_i32_e32 vcc_lo, 5, v30
	v_and_b32_e32 v27, 7, v26
	s_or_b32 vcc_lo, s0, vcc_lo
	v_cmp_gt_i32_e64 s0, 31, v25
	s_wait_alu 0xfffe
	v_add_co_ci_u32_e32 v24, vcc_lo, 0, v24, vcc_lo
	s_or_b32 vcc_lo, s2, s1
	v_cmp_gt_i32_e64 s1, 31, v21
	s_wait_alu 0xfffe
	v_add_co_ci_u32_e32 v18, vcc_lo, 0, v18, vcc_lo
	v_cmp_lt_i32_e32 vcc_lo, 5, v27
	v_cndmask_b32_e64 v24, 0x7c00, v24, s0
	v_cmp_eq_u32_e64 s0, 3, v27
	v_lshrrev_b32_e32 v26, 2, v26
	s_wait_alu 0xf1ff
	v_cndmask_b32_e64 v18, 0x7c00, v18, s1
	v_cmp_eq_u32_e64 s1, 0x40f, v25
	s_mul_u64 s[2:3], s[4:5], 0x88
	s_or_b32 vcc_lo, s0, vcc_lo
	v_cmp_eq_u32_e64 s0, 3, v32
	s_delay_alu instid0(VALU_DEP_2)
	v_cndmask_b32_e64 v0, v24, v0, s1
	s_wait_alu 0xfffe
	v_add_co_ci_u32_e32 v24, vcc_lo, 0, v26, vcc_lo
	v_cmp_eq_u32_e32 vcc_lo, 0x40f, v21
	v_cmp_eq_u32_e64 s1, 0x40f, v28
	v_and_or_b32 v0, 0x8000, v1, v0
	v_lshrrev_b32_e32 v1, 2, v22
	v_bfe_u32 v22, v15, 20, 11
	s_wait_alu 0xfffd
	v_cndmask_b32_e32 v4, v18, v4, vcc_lo
	v_cmp_gt_i32_e32 vcc_lo, 31, v28
	v_and_b32_e32 v0, 0xffff, v0
	s_delay_alu instid0(VALU_DEP_3) | instskip(SKIP_4) | instid1(VALU_DEP_2)
	v_and_or_b32 v4, 0x8000, v5, v4
	s_wait_alu 0xfffd
	v_cndmask_b32_e32 v18, 0x7c00, v24, vcc_lo
	v_cmp_lt_i32_e32 vcc_lo, 5, v32
	s_wait_alu 0xf1ff
	v_cndmask_b32_e64 v5, v18, v8, s1
	s_or_b32 vcc_lo, s0, vcc_lo
	v_lshl_or_b32 v8, v4, 16, v0
	s_wait_alu 0xfffe
	v_add_co_ci_u32_e32 v1, vcc_lo, 0, v1, vcc_lo
	v_med3_i32 v0, v29, 0, 13
	v_cmp_ne_u32_e32 vcc_lo, 0, v6
	v_lshrrev_b32_e32 v6, 16, v9
	s_delay_alu instid0(VALU_DEP_3)
	v_lshrrev_b32_e32 v9, v0, v69
	s_wait_alu 0xfffd
	v_cndmask_b32_e64 v4, 0, 1, vcc_lo
	v_cmp_gt_i32_e32 vcc_lo, 31, v23
	v_and_or_b32 v18, 0x8000, v6, v5
	v_lshlrev_b32_e32 v0, v0, v9
	s_delay_alu instid0(VALU_DEP_4) | instskip(SKIP_4) | instid1(VALU_DEP_2)
	v_lshl_or_b32 v4, v4, 9, 0x7c00
	s_wait_alu 0xfffd
	v_cndmask_b32_e32 v1, 0x7c00, v1, vcc_lo
	v_cmp_eq_u32_e32 vcc_lo, 0x40f, v23
	s_wait_alu 0xfffd
	v_cndmask_b32_e32 v21, v1, v4, vcc_lo
	v_fma_f16 v1, v63, v2, -v3
	v_and_or_b32 v2, 0x1ff, v15, v14
	v_cmp_ne_u32_e32 vcc_lo, v0, v69
	v_lshrrev_b32_e32 v4, 8, v15
	v_add_nc_u32_e32 v14, 0xfffffc10, v31
	v_cvt_f32_f16_e32 v0, v1
	s_wait_alu 0xfffd
	v_cndmask_b32_e64 v3, 0, 1, vcc_lo
	v_cmp_ne_u32_e32 vcc_lo, 0, v2
	v_lshl_or_b32 v6, v14, 12, v10
	v_cvt_f64_f32_e32 v[0:1], v0
	s_delay_alu instid0(VALU_DEP_4) | instskip(SKIP_4) | instid1(VALU_DEP_3)
	v_or_b32_e32 v5, v9, v3
	s_wait_alu 0xfffd
	v_cndmask_b32_e64 v2, 0, 1, vcc_lo
	v_cmp_gt_i32_e32 vcc_lo, 1, v14
	v_lshrrev_b32_e32 v9, 16, v7
	v_and_or_b32 v23, 0xffe, v4, v2
	v_mul_f64_e32 v[2:3], s[8:9], v[12:13]
	v_sub_nc_u32_e32 v4, 0x3f1, v22
	s_wait_alu 0xfffd
	v_cndmask_b32_e32 v12, v6, v5, vcc_lo
	v_add_co_u32 v6, vcc_lo, v19, v16
	v_or_b32_e32 v13, 0x1000, v23
	v_med3_i32 v24, v4, 0, 13
	ds_load_2addr_b32 v[4:5], v40 offset0:136 offset1:170
	s_wait_alu 0xfffd
	v_add_co_ci_u32_e32 v7, vcc_lo, v20, v17, vcc_lo
	v_and_b32_e32 v17, 0xffff, v18
	v_lshrrev_b32_e32 v16, v24, v13
	v_and_b32_e32 v18, 7, v12
	v_and_or_b32 v9, 0x8000, v9, v21
	global_store_b32 v[6:7], v8, off
	v_lshlrev_b32_e32 v8, v24, v16
	v_cmp_lt_i32_e32 vcc_lo, 5, v18
	v_cmp_eq_u32_e64 s0, 3, v18
	v_lshl_or_b32 v17, v9, 16, v17
	v_lshrrev_b32_e32 v9, 2, v12
	v_cmp_ne_u32_e64 s1, v8, v13
	v_add_nc_u32_e32 v12, 0xfffffc10, v22
	s_or_b32 vcc_lo, s0, vcc_lo
	s_wait_alu 0xfffe
	v_add_co_ci_u32_e32 v9, vcc_lo, 0, v9, vcc_lo
	v_cndmask_b32_e64 v8, 0, 1, s1
	v_cmp_ne_u32_e32 vcc_lo, 0, v10
	s_wait_dscnt 0x0
	v_lshrrev_b32_e32 v13, 16, v4
	v_mul_f64_e32 v[0:1], s[8:9], v[0:1]
	v_cmp_eq_u32_e64 s1, 0x40f, v14
	v_or_b32_e32 v8, v16, v8
	v_lshl_or_b32 v16, v12, 12, v23
	s_wait_alu 0xfffd
	v_cndmask_b32_e64 v10, 0, 1, vcc_lo
	v_cmp_gt_i32_e32 vcc_lo, 1, v12
	v_mul_f16_e32 v18, v65, v13
	v_and_or_b32 v2, 0x1ff, v3, v2
	v_bfe_u32 v20, v3, 20, 11
	s_wait_alu 0xfffd
	v_cndmask_b32_e32 v16, v16, v8, vcc_lo
	v_cmp_gt_i32_e32 vcc_lo, 31, v14
	v_fmac_f16_e32 v18, v61, v4
	v_lshl_or_b32 v10, v10, 9, 0x7c00
	v_mul_f16_e32 v4, v65, v4
	s_wait_alu 0xfffd
	v_dual_cndmask_b32 v19, 0x7c00, v9 :: v_dual_and_b32 v8, 7, v16
	v_cmp_ne_u32_e32 vcc_lo, 0, v2
	v_cvt_f32_f16_e32 v9, v18
	v_lshrrev_b32_e32 v18, 8, v3
	s_delay_alu instid0(VALU_DEP_4)
	v_cmp_eq_u32_e64 s0, 3, v8
	v_lshrrev_b32_e32 v14, 2, v16
	s_wait_alu 0xfffd
	v_cndmask_b32_e64 v2, 0, 1, vcc_lo
	v_cmp_lt_i32_e32 vcc_lo, 5, v8
	s_wait_alu 0xf1ff
	v_cndmask_b32_e64 v10, v19, v10, s1
	v_fma_f16 v4, v61, v13, -v4
	v_cvt_f64_f32_e32 v[8:9], v9
	v_and_or_b32 v2, 0xffe, v18, v2
	v_sub_nc_u32_e32 v18, 0x3f1, v20
	s_or_b32 vcc_lo, s0, vcc_lo
	v_and_or_b32 v22, 0x8000, v11, v10
	s_wait_alu 0xfffe
	v_add_co_ci_u32_e32 v14, vcc_lo, 0, v14, vcc_lo
	v_or_b32_e32 v16, 0x1000, v2
	v_med3_i32 v18, v18, 0, 13
	v_cmp_ne_u32_e32 vcc_lo, 0, v23
	v_cvt_f32_f16_e32 v4, v4
	v_lshrrev_b32_e32 v3, 16, v3
	v_and_or_b32 v0, 0x1ff, v1, v0
	v_lshrrev_b32_e32 v21, v18, v16
	s_wait_alu 0xfffd
	v_cndmask_b32_e64 v19, 0, 1, vcc_lo
	v_cmp_gt_i32_e32 vcc_lo, 31, v12
	v_lshrrev_b32_e32 v11, 8, v1
	v_lshlrev_b32_e32 v10, v18, v21
	s_delay_alu instid0(VALU_DEP_4) | instskip(SKIP_4) | instid1(VALU_DEP_2)
	v_lshl_or_b32 v19, v19, 9, 0x7c00
	s_wait_alu 0xfffd
	v_cndmask_b32_e32 v14, 0x7c00, v14, vcc_lo
	v_cmp_eq_u32_e32 vcc_lo, 0x40f, v12
	s_wait_alu 0xfffd
	v_cndmask_b32_e32 v12, v14, v19, vcc_lo
	v_cmp_ne_u32_e32 vcc_lo, v10, v16
	v_lshrrev_b32_e32 v14, 16, v15
	v_bfe_u32 v15, v1, 20, 11
	v_add_nc_u32_e32 v16, 0xfffffc10, v20
	s_wait_alu 0xfffd
	v_cndmask_b32_e64 v10, 0, 1, vcc_lo
	v_cmp_ne_u32_e32 vcc_lo, 0, v0
	v_sub_nc_u32_e32 v18, 0x3f1, v15
	v_lshl_or_b32 v19, v16, 12, v2
	v_and_or_b32 v12, 0x8000, v14, v12
	v_or_b32_e32 v13, v21, v10
	s_wait_alu 0xfffd
	v_cndmask_b32_e64 v0, 0, 1, vcc_lo
	v_mul_f64_e32 v[8:9], s[8:9], v[8:9]
	v_cmp_gt_i32_e32 vcc_lo, 1, v16
	v_med3_i32 v18, v18, 0, 13
	v_and_b32_e32 v14, 0xffff, v22
	v_and_or_b32 v0, 0xffe, v11, v0
	v_cvt_f64_f32_e32 v[10:11], v4
	s_wait_alu 0xfffd
	v_cndmask_b32_e32 v19, v19, v13, vcc_lo
	v_add_co_u32 v6, vcc_lo, v6, s2
	v_or_b32_e32 v4, 0x1000, v0
	s_wait_alu 0xfffd
	v_add_co_ci_u32_e32 v7, vcc_lo, s3, v7, vcc_lo
	v_lshl_or_b32 v21, v12, 16, v14
	v_and_b32_e32 v14, 7, v19
	v_lshrrev_b32_e32 v20, v18, v4
	v_add_co_u32 v12, vcc_lo, v6, s2
	s_wait_alu 0xfffd
	v_add_co_ci_u32_e32 v13, vcc_lo, s3, v7, vcc_lo
	s_delay_alu instid0(VALU_DEP_3)
	v_lshlrev_b32_e32 v18, v18, v20
	v_cmp_lt_i32_e32 vcc_lo, 5, v14
	v_cmp_eq_u32_e64 s0, 3, v14
	v_lshrrev_b32_e32 v14, 2, v19
	v_lshrrev_b32_e32 v19, 16, v5
	v_cmp_ne_u32_e64 s1, v18, v4
	v_add_nc_u32_e32 v18, 0xfffffc10, v15
	s_or_b32 vcc_lo, s0, vcc_lo
	s_wait_alu 0xfffe
	v_add_co_ci_u32_e32 v14, vcc_lo, 0, v14, vcc_lo
	v_cndmask_b32_e64 v4, 0, 1, s1
	v_cmp_ne_u32_e32 vcc_lo, 0, v2
	v_lshl_or_b32 v15, v18, 12, v0
	s_delay_alu instid0(VALU_DEP_3)
	v_or_b32_e32 v4, v20, v4
	v_mul_f16_e32 v20, v62, v19
	s_wait_alu 0xfffd
	v_cndmask_b32_e64 v2, 0, 1, vcc_lo
	v_cmp_gt_i32_e32 vcc_lo, 1, v18
	v_and_or_b32 v8, 0x1ff, v9, v8
	v_lshrrev_b32_e32 v23, 8, v9
	v_fmac_f16_e32 v20, v59, v5
	v_lshl_or_b32 v2, v2, 9, 0x7c00
	v_mul_f64_e32 v[10:11], s[8:9], v[10:11]
	v_bfe_u32 v24, v9, 20, 11
	v_mul_f16_e32 v5, v62, v5
	s_delay_alu instid0(VALU_DEP_1) | instskip(NEXT) | instid1(VALU_DEP_1)
	v_fma_f16 v5, v59, v19, -v5
	v_cvt_f32_f16_e32 v5, v5
	v_bfe_u32 v25, v11, 20, 11
	s_wait_alu 0xfffd
	v_cndmask_b32_e32 v4, v15, v4, vcc_lo
	v_cmp_gt_i32_e32 vcc_lo, 31, v16
	s_wait_alu 0xfffd
	v_cndmask_b32_e32 v22, 0x7c00, v14, vcc_lo
	v_cvt_f32_f16_e32 v14, v20
	v_cmp_ne_u32_e32 vcc_lo, 0, v8
	v_and_b32_e32 v20, 7, v4
	v_lshrrev_b32_e32 v4, 2, v4
	s_delay_alu instid0(VALU_DEP_4)
	v_cvt_f64_f32_e32 v[14:15], v14
	s_wait_alu 0xfffd
	v_cndmask_b32_e64 v8, 0, 1, vcc_lo
	v_cmp_eq_u32_e32 vcc_lo, 0x40f, v16
	v_cmp_eq_u32_e64 s0, 3, v20
	v_sub_nc_u32_e32 v16, 0x3f1, v24
	s_delay_alu instid0(VALU_DEP_4)
	v_and_or_b32 v8, 0xffe, v23, v8
	s_wait_alu 0xfffd
	v_cndmask_b32_e32 v2, v22, v2, vcc_lo
	v_cmp_lt_i32_e32 vcc_lo, 5, v20
	v_med3_i32 v16, v16, 0, 13
	v_or_b32_e32 v20, 0x1000, v8
	s_delay_alu instid0(VALU_DEP_4)
	v_and_or_b32 v22, 0x8000, v3, v2
	s_or_b32 vcc_lo, s0, vcc_lo
	v_cvt_f64_f32_e32 v[2:3], v5
	s_wait_alu 0xfffe
	v_add_co_ci_u32_e32 v4, vcc_lo, 0, v4, vcc_lo
	v_cmp_ne_u32_e32 vcc_lo, 0, v0
	v_lshrrev_b32_e32 v19, v16, v20
	s_wait_alu 0xfffd
	v_cndmask_b32_e64 v0, 0, 1, vcc_lo
	v_cmp_gt_i32_e32 vcc_lo, 31, v18
	s_delay_alu instid0(VALU_DEP_3) | instskip(NEXT) | instid1(VALU_DEP_3)
	v_lshlrev_b32_e32 v5, v16, v19
	v_lshl_or_b32 v0, v0, 9, 0x7c00
	s_wait_alu 0xfffd
	v_cndmask_b32_e32 v4, 0x7c00, v4, vcc_lo
	v_cmp_eq_u32_e32 vcc_lo, 0x40f, v18
	s_wait_alu 0xfffd
	s_delay_alu instid0(VALU_DEP_2)
	v_cndmask_b32_e32 v16, v4, v0, vcc_lo
	v_and_or_b32 v0, 0x1ff, v11, v10
	v_cmp_ne_u32_e32 vcc_lo, v5, v20
	v_lshrrev_b32_e32 v10, 16, v1
	v_add_nc_u32_e32 v20, 0xfffffc10, v24
	v_lshrrev_b32_e32 v24, 8, v11
	ds_load_2addr_b32 v[4:5], v40 offset0:204 offset1:238
	s_wait_alu 0xfffd
	v_cndmask_b32_e64 v18, 0, 1, vcc_lo
	v_cmp_ne_u32_e32 vcc_lo, 0, v0
	v_mul_f64_e32 v[0:1], s[8:9], v[14:15]
	v_and_or_b32 v10, 0x8000, v10, v16
	v_lshl_or_b32 v15, v20, 12, v8
	v_or_b32_e32 v14, v19, v18
	s_wait_alu 0xfffd
	v_cndmask_b32_e64 v23, 0, 1, vcc_lo
	v_sub_nc_u32_e32 v18, 0x3f1, v25
	v_cmp_gt_i32_e32 vcc_lo, 1, v20
	v_and_b32_e32 v19, 0xffff, v22
	s_clause 0x1
	global_store_b32 v[6:7], v17, off
	global_store_b32 v[12:13], v21, off
	v_and_or_b32 v16, 0xffe, v24, v23
	v_med3_i32 v18, v18, 0, 13
	s_wait_alu 0xfffd
	v_cndmask_b32_e32 v14, v15, v14, vcc_lo
	v_lshl_or_b32 v10, v10, 16, v19
	v_add_co_u32 v6, vcc_lo, v12, s2
	v_or_b32_e32 v15, 0x1000, v16
	s_delay_alu instid0(VALU_DEP_4)
	v_and_b32_e32 v17, 7, v14
	s_wait_alu 0xfffd
	v_add_co_ci_u32_e32 v7, vcc_lo, s3, v13, vcc_lo
	s_wait_dscnt 0x0
	v_lshrrev_b32_e32 v21, 16, v4
	v_lshrrev_b32_e32 v19, v18, v15
	v_cmp_lt_i32_e32 vcc_lo, 5, v17
	v_cmp_eq_u32_e64 s0, 3, v17
	v_mul_f64_e32 v[2:3], s[8:9], v[2:3]
	v_lshrrev_b32_e32 v14, 2, v14
	v_lshlrev_b32_e32 v12, v18, v19
	v_mul_f16_e32 v13, v60, v21
	s_or_b32 vcc_lo, s0, vcc_lo
	v_lshrrev_b32_e32 v11, 16, v11
	s_wait_alu 0xfffe
	v_add_co_ci_u32_e32 v14, vcc_lo, 0, v14, vcc_lo
	v_cmp_ne_u32_e64 s1, v12, v15
	v_add_nc_u32_e32 v15, 0xfffffc10, v25
	v_cmp_ne_u32_e32 vcc_lo, 0, v8
	v_fmac_f16_e32 v13, v57, v4
	v_mul_f16_e32 v4, v60, v4
	s_wait_alu 0xf1ff
	v_cndmask_b32_e64 v12, 0, 1, s1
	v_lshl_or_b32 v18, v15, 12, v16
	v_and_or_b32 v0, 0x1ff, v1, v0
	s_wait_alu 0xfffd
	v_cndmask_b32_e64 v8, 0, 1, vcc_lo
	v_cmp_gt_i32_e32 vcc_lo, 1, v15
	v_or_b32_e32 v17, v19, v12
	v_cvt_f32_f16_e32 v12, v13
	v_bfe_u32 v19, v1, 20, 11
	v_lshl_or_b32 v8, v8, 9, 0x7c00
	v_fma_f16 v4, v57, v21, -v4
	s_wait_alu 0xfffd
	v_cndmask_b32_e32 v17, v18, v17, vcc_lo
	v_cmp_ne_u32_e32 vcc_lo, 0, v0
	v_cvt_f64_f32_e32 v[12:13], v12
	v_lshrrev_b32_e32 v18, 8, v1
	v_cvt_f32_f16_e32 v4, v4
	v_and_b32_e32 v22, 7, v17
	s_wait_alu 0xfffd
	v_cndmask_b32_e64 v0, 0, 1, vcc_lo
	v_cmp_gt_i32_e32 vcc_lo, 31, v20
	global_store_b32 v[6:7], v10, off
	v_lshrrev_b32_e32 v1, 16, v1
	v_cmp_eq_u32_e64 s0, 3, v22
	v_and_or_b32 v0, 0xffe, v18, v0
	s_wait_alu 0xfffd
	v_cndmask_b32_e32 v14, 0x7c00, v14, vcc_lo
	v_sub_nc_u32_e32 v18, 0x3f1, v19
	v_cmp_eq_u32_e32 vcc_lo, 0x40f, v20
	v_lshrrev_b32_e32 v20, 16, v9
	v_lshrrev_b32_e32 v9, 2, v17
	v_and_or_b32 v2, 0x1ff, v3, v2
	v_med3_i32 v18, v18, 0, 13
	s_wait_alu 0xfffd
	v_cndmask_b32_e32 v14, v14, v8, vcc_lo
	v_or_b32_e32 v8, 0x1000, v0
	v_cmp_lt_i32_e32 vcc_lo, 5, v22
	v_bfe_u32 v21, v3, 20, 11
	v_add_nc_u32_e32 v19, 0xfffffc10, v19
	v_and_or_b32 v10, 0x8000, v20, v14
	v_lshrrev_b32_e32 v17, v18, v8
	s_or_b32 vcc_lo, s0, vcc_lo
	v_add_nc_u32_e32 v14, 0xfffffc10, v21
	s_wait_alu 0xfffe
	v_add_co_ci_u32_e32 v22, vcc_lo, 0, v9, vcc_lo
	v_lshlrev_b32_e32 v9, v18, v17
	v_cmp_ne_u32_e32 vcc_lo, 0, v2
	v_lshrrev_b32_e32 v18, 8, v3
	s_wait_alu 0xfffd
	v_cndmask_b32_e64 v2, 0, 1, vcc_lo
	v_cmp_ne_u32_e32 vcc_lo, v9, v8
	v_mul_f64_e32 v[8:9], s[8:9], v[12:13]
	s_delay_alu instid0(VALU_DEP_3)
	v_and_or_b32 v2, 0xffe, v18, v2
	s_wait_alu 0xfffd
	v_cndmask_b32_e64 v23, 0, 1, vcc_lo
	v_cmp_ne_u32_e32 vcc_lo, 0, v16
	v_sub_nc_u32_e32 v18, 0x3f1, v21
	v_cvt_f64_f32_e32 v[12:13], v4
	s_delay_alu instid0(VALU_DEP_4)
	v_or_b32_e32 v16, v17, v23
	s_wait_alu 0xfffd
	v_cndmask_b32_e64 v4, 0, 1, vcc_lo
	v_cmp_gt_i32_e32 vcc_lo, 31, v15
	v_lshl_or_b32 v17, v19, 12, v0
	v_or_b32_e32 v23, 0x1000, v2
	v_med3_i32 v18, v18, 0, 13
	v_lshl_or_b32 v4, v4, 9, 0x7c00
	s_wait_alu 0xfffd
	v_cndmask_b32_e32 v22, 0x7c00, v22, vcc_lo
	v_cmp_gt_i32_e32 vcc_lo, 1, v19
	s_wait_alu 0xfffd
	v_cndmask_b32_e32 v16, v17, v16, vcc_lo
	v_lshrrev_b32_e32 v17, v18, v23
	v_cmp_eq_u32_e32 vcc_lo, 0x40f, v15
	s_delay_alu instid0(VALU_DEP_3) | instskip(NEXT) | instid1(VALU_DEP_3)
	v_and_b32_e32 v15, 7, v16
	v_lshlrev_b32_e32 v18, v18, v17
	s_wait_alu 0xfffd
	v_cndmask_b32_e32 v4, v22, v4, vcc_lo
	v_lshrrev_b32_e32 v22, 16, v3
	v_cmp_lt_i32_e32 vcc_lo, 5, v15
	v_cmp_ne_u32_e64 s0, v18, v23
	s_delay_alu instid0(VALU_DEP_4) | instskip(SKIP_2) | instid1(VALU_DEP_3)
	v_and_or_b32 v4, 0x8000, v11, v4
	v_lshrrev_b32_e32 v18, 16, v5
	s_wait_alu 0xf1ff
	v_cndmask_b32_e64 v11, 0, 1, s0
	v_cmp_eq_u32_e64 s0, 3, v15
	v_and_b32_e32 v15, 0xffff, v10
	v_lshrrev_b32_e32 v10, 2, v16
	v_lshl_or_b32 v16, v14, 12, v2
	v_or_b32_e32 v11, v17, v11
	s_or_b32 vcc_lo, s0, vcc_lo
	v_and_or_b32 v8, 0x1ff, v9, v8
	s_wait_alu 0xfffe
	v_add_co_ci_u32_e32 v17, vcc_lo, 0, v10, vcc_lo
	v_cmp_ne_u32_e32 vcc_lo, 0, v0
	v_bfe_u32 v21, v9, 20, 11
	v_lshrrev_b32_e32 v20, 8, v9
	v_lshl_or_b32 v15, v4, 16, v15
	s_wait_alu 0xfffd
	v_cndmask_b32_e64 v0, 0, 1, vcc_lo
	v_cmp_gt_i32_e32 vcc_lo, 1, v14
	s_delay_alu instid0(VALU_DEP_2)
	v_lshl_or_b32 v0, v0, 9, 0x7c00
	s_wait_alu 0xfffd
	v_cndmask_b32_e32 v16, v16, v11, vcc_lo
	v_cmp_gt_i32_e32 vcc_lo, 31, v19
	v_mul_f64_e32 v[10:11], s[8:9], v[12:13]
	s_wait_alu 0xfffd
	s_delay_alu instid0(VALU_DEP_3) | instskip(SKIP_3) | instid1(VALU_DEP_4)
	v_dual_cndmask_b32 v12, 0x7c00, v17 :: v_dual_and_b32 v13, 7, v16
	v_mul_f16_e32 v17, v58, v18
	v_cmp_ne_u32_e32 vcc_lo, 0, v8
	v_lshrrev_b32_e32 v16, 2, v16
	v_cmp_eq_u32_e64 s0, 3, v13
	s_delay_alu instid0(VALU_DEP_4) | instskip(SKIP_3) | instid1(VALU_DEP_3)
	v_fmac_f16_e32 v17, v55, v5
	s_wait_alu 0xfffd
	v_cndmask_b32_e64 v8, 0, 1, vcc_lo
	v_cmp_eq_u32_e32 vcc_lo, 0x40f, v19
	v_cvt_f32_f16_e32 v17, v17
	s_delay_alu instid0(VALU_DEP_3)
	v_and_or_b32 v8, 0xffe, v20, v8
	s_wait_alu 0xfffd
	v_cndmask_b32_e32 v0, v12, v0, vcc_lo
	v_sub_nc_u32_e32 v12, 0x3f1, v21
	v_cmp_lt_i32_e32 vcc_lo, 5, v13
	v_or_b32_e32 v19, 0x1000, v8
	s_delay_alu instid0(VALU_DEP_3)
	v_med3_i32 v20, v12, 0, 13
	v_cvt_f64_f32_e32 v[12:13], v17
	s_or_b32 vcc_lo, s0, vcc_lo
	s_wait_alu 0xfffe
	v_add_co_ci_u32_e32 v16, vcc_lo, 0, v16, vcc_lo
	v_cmp_ne_u32_e32 vcc_lo, 0, v2
	v_lshrrev_b32_e32 v17, v20, v19
	s_wait_alu 0xfffd
	v_cndmask_b32_e64 v2, 0, 1, vcc_lo
	v_cmp_gt_i32_e32 vcc_lo, 31, v14
	s_delay_alu instid0(VALU_DEP_3)
	v_lshlrev_b32_e32 v4, v20, v17
	v_and_or_b32 v20, 0x8000, v1, v0
	v_and_or_b32 v0, 0x1ff, v11, v10
	v_lshl_or_b32 v2, v2, 9, 0x7c00
	s_wait_alu 0xfffd
	v_cndmask_b32_e32 v16, 0x7c00, v16, vcc_lo
	v_cmp_eq_u32_e32 vcc_lo, 0x40f, v14
	v_add_nc_u32_e32 v10, 0xfffffc10, v21
	v_and_b32_e32 v20, 0xffff, v20
	s_wait_alu 0xfffd
	v_cndmask_b32_e32 v14, v16, v2, vcc_lo
	v_cmp_ne_u32_e32 vcc_lo, v4, v19
	v_mul_f16_e32 v2, v58, v5
	v_lshrrev_b32_e32 v4, 8, v11
	v_bfe_u32 v16, v11, 20, 11
	v_lshl_or_b32 v5, v10, 12, v8
	s_wait_alu 0xfffd
	v_cndmask_b32_e64 v1, 0, 1, vcc_lo
	v_cmp_ne_u32_e32 vcc_lo, 0, v0
	v_fma_f16 v2, v55, v18, -v2
	v_lshrrev_b32_e32 v11, 16, v11
	s_delay_alu instid0(VALU_DEP_4) | instskip(SKIP_4) | instid1(VALU_DEP_3)
	v_or_b32_e32 v1, v17, v1
	s_wait_alu 0xfffd
	v_cndmask_b32_e64 v0, 0, 1, vcc_lo
	v_cvt_f32_f16_e32 v2, v2
	v_cmp_gt_i32_e32 vcc_lo, 1, v10
	v_and_or_b32 v17, 0xffe, v4, v0
	v_sub_nc_u32_e32 v0, 0x3f1, v16
	s_wait_alu 0xfffd
	v_cndmask_b32_e32 v18, v5, v1, vcc_lo
	v_cvt_f64_f32_e32 v[1:2], v2
	v_mul_f64_e32 v[3:4], s[8:9], v[12:13]
	v_or_b32_e32 v19, 0x1000, v17
	v_med3_i32 v21, v0, 0, 13
	v_add_nc_u32_e32 v0, 0x400, v40
	v_and_b32_e32 v23, 7, v18
	v_add_co_u32 v5, vcc_lo, v6, s2
	s_delay_alu instid0(VALU_DEP_4)
	v_lshrrev_b32_e32 v24, v21, v19
	ds_load_2addr_b32 v[12:13], v0 offset0:16 offset1:50
	s_wait_alu 0xfffd
	v_add_co_ci_u32_e32 v6, vcc_lo, s3, v7, vcc_lo
	v_cmp_lt_i32_e32 vcc_lo, 5, v23
	v_cmp_eq_u32_e64 s0, 3, v23
	v_lshrrev_b32_e32 v18, 2, v18
	v_and_or_b32 v7, 0x8000, v22, v14
	v_lshlrev_b32_e32 v14, v21, v24
	v_add_nc_u32_e32 v16, 0xfffffc10, v16
	s_or_b32 vcc_lo, s0, vcc_lo
	s_wait_alu 0xfffe
	v_add_co_ci_u32_e32 v18, vcc_lo, 0, v18, vcc_lo
	v_cmp_ne_u32_e64 s1, v14, v19
	v_cmp_ne_u32_e32 vcc_lo, 0, v8
	v_lshl_or_b32 v19, v16, 12, v17
	s_wait_alu 0xf1ff
	s_delay_alu instid0(VALU_DEP_3)
	v_cndmask_b32_e64 v14, 0, 1, s1
	s_wait_alu 0xfffd
	v_cndmask_b32_e64 v8, 0, 1, vcc_lo
	v_cmp_gt_i32_e32 vcc_lo, 31, v10
	s_wait_dscnt 0x0
	v_lshrrev_b32_e32 v21, 16, v12
	v_or_b32_e32 v14, v24, v14
	v_lshl_or_b32 v8, v8, 9, 0x7c00
	s_wait_alu 0xfffd
	v_cndmask_b32_e32 v18, 0x7c00, v18, vcc_lo
	v_cmp_gt_i32_e32 vcc_lo, 1, v16
	v_mul_f64_e32 v[1:2], s[8:9], v[1:2]
	v_and_or_b32 v3, 0x1ff, v4, v3
	s_wait_alu 0xfffd
	v_cndmask_b32_e32 v14, v19, v14, vcc_lo
	v_lshl_or_b32 v19, v7, 16, v20
	v_mul_f16_e32 v7, v56, v21
	v_cmp_eq_u32_e32 vcc_lo, 0x40f, v10
	v_cmp_ne_u32_e64 s1, 0, v3
	v_lshrrev_b32_e32 v20, 16, v9
	v_lshrrev_b32_e32 v9, 2, v14
	v_fmac_f16_e32 v7, v54, v12
	s_wait_alu 0xfffd
	v_cndmask_b32_e32 v18, v18, v8, vcc_lo
	v_and_b32_e32 v8, 7, v14
	s_wait_alu 0xf1ff
	v_cndmask_b32_e64 v3, 0, 1, s1
	v_lshrrev_b32_e32 v10, 8, v4
	v_cvt_f32_f16_e32 v7, v7
	v_bfe_u32 v14, v4, 20, 11
	v_cmp_lt_i32_e32 vcc_lo, 5, v8
	v_cmp_eq_u32_e64 s0, 3, v8
	v_and_or_b32 v3, 0xffe, v10, v3
	v_cvt_f64_f32_e32 v[7:8], v7
	v_sub_nc_u32_e32 v10, 0x3f1, v14
	v_and_or_b32 v18, 0x8000, v20, v18
	s_or_b32 vcc_lo, s0, vcc_lo
	v_or_b32_e32 v22, 0x1000, v3
	s_wait_alu 0xfffe
	v_add_co_ci_u32_e32 v9, vcc_lo, 0, v9, vcc_lo
	v_cmp_ne_u32_e32 vcc_lo, 0, v17
	v_med3_i32 v23, v10, 0, 13
	v_mul_f16_e32 v10, v56, v12
	v_add_nc_u32_e32 v14, 0xfffffc10, v14
	v_and_b32_e32 v18, 0xffff, v18
	s_wait_alu 0xfffd
	v_cndmask_b32_e64 v17, 0, 1, vcc_lo
	v_cmp_gt_i32_e32 vcc_lo, 31, v16
	s_delay_alu instid0(VALU_DEP_2)
	v_lshl_or_b32 v17, v17, 9, 0x7c00
	s_wait_alu 0xfffd
	v_cndmask_b32_e32 v9, 0x7c00, v9, vcc_lo
	v_cmp_eq_u32_e32 vcc_lo, 0x40f, v16
	v_lshrrev_b32_e32 v16, v23, v22
	v_and_or_b32 v1, 0x1ff, v2, v1
	s_wait_alu 0xfffd
	v_cndmask_b32_e32 v12, v9, v17, vcc_lo
	v_fma_f16 v17, v54, v21, -v10
	v_lshlrev_b32_e32 v21, v23, v16
	v_add_co_u32 v9, vcc_lo, v5, s2
	s_wait_alu 0xfffd
	v_add_co_ci_u32_e32 v10, vcc_lo, s3, v6, vcc_lo
	s_delay_alu instid0(VALU_DEP_3)
	v_cmp_ne_u32_e32 vcc_lo, v21, v22
	v_and_or_b32 v20, 0x8000, v11, v12
	v_cvt_f32_f16_e32 v11, v17
	v_lshrrev_b32_e32 v21, 8, v2
	v_bfe_u32 v22, v2, 20, 11
	s_wait_alu 0xfffd
	v_cndmask_b32_e64 v17, 0, 1, vcc_lo
	v_cmp_ne_u32_e32 vcc_lo, 0, v1
	v_cvt_f64_f32_e32 v[11:12], v11
	v_mul_f64_e32 v[7:8], s[8:9], v[7:8]
	global_store_b32 v[5:6], v15, off
	global_store_b32 v[9:10], v19, off
	v_or_b32_e32 v16, v16, v17
	s_wait_alu 0xfffd
	v_cndmask_b32_e64 v1, 0, 1, vcc_lo
	v_lshl_or_b32 v17, v14, 12, v3
	v_cmp_gt_i32_e32 vcc_lo, 1, v14
	v_lshl_or_b32 v15, v20, 16, v18
	v_lshrrev_b32_e32 v2, 16, v2
	v_and_or_b32 v1, 0xffe, v21, v1
	v_sub_nc_u32_e32 v21, 0x3f1, v22
	s_wait_alu 0xfffd
	v_cndmask_b32_e32 v16, v17, v16, vcc_lo
	v_add_co_u32 v5, vcc_lo, v9, s2
	v_or_b32_e32 v17, 0x1000, v1
	v_med3_i32 v21, v21, 0, 13
	s_delay_alu instid0(VALU_DEP_4)
	v_and_b32_e32 v18, 7, v16
	s_wait_alu 0xfffd
	v_add_co_ci_u32_e32 v6, vcc_lo, s3, v10, vcc_lo
	v_lshrrev_b32_e32 v10, 2, v16
	v_lshrrev_b32_e32 v19, v21, v17
	v_cmp_lt_i32_e32 vcc_lo, 5, v18
	v_cmp_eq_u32_e64 s0, 3, v18
	v_lshrrev_b32_e32 v18, 16, v13
	v_add_nc_u32_e32 v16, 0xfffffc10, v22
	v_lshlrev_b32_e32 v9, v21, v19
	global_store_b32 v[5:6], v15, off
	s_or_b32 vcc_lo, s0, vcc_lo
	s_wait_alu 0xfffe
	v_add_co_ci_u32_e32 v20, vcc_lo, 0, v10, vcc_lo
	v_cmp_ne_u32_e64 s1, v9, v17
	v_cmp_gt_i32_e32 vcc_lo, 31, v14
	v_mul_f16_e32 v17, v53, v18
	v_lshl_or_b32 v21, v16, 12, v1
	s_wait_alu 0xf1ff
	v_cndmask_b32_e64 v9, 0, 1, s1
	s_wait_alu 0xfffd
	v_cndmask_b32_e32 v20, 0x7c00, v20, vcc_lo
	v_cmp_gt_i32_e32 vcc_lo, 1, v16
	v_fmac_f16_e32 v17, v52, v13
	v_and_or_b32 v7, 0x1ff, v8, v7
	v_or_b32_e32 v19, v19, v9
	v_mul_f64_e32 v[9:10], s[8:9], v[11:12]
	v_bfe_u32 v22, v8, 20, 11
	v_cvt_f32_f16_e32 v11, v17
	v_cmp_eq_u32_e64 s1, 0x40f, v14
	s_wait_alu 0xfffd
	v_cndmask_b32_e32 v19, v21, v19, vcc_lo
	v_cmp_ne_u32_e32 vcc_lo, 0, v3
	v_lshrrev_b32_e32 v21, 8, v8
	v_cvt_f64_f32_e32 v[11:12], v11
	v_mul_f16_e32 v13, v53, v13
	v_and_b32_e32 v17, 7, v19
	s_wait_alu 0xfffd
	v_cndmask_b32_e64 v3, 0, 1, vcc_lo
	v_cmp_ne_u32_e32 vcc_lo, 0, v7
	v_lshrrev_b32_e32 v8, 16, v8
	v_cmp_eq_u32_e64 s0, 3, v17
	s_delay_alu instid0(VALU_DEP_4)
	v_lshl_or_b32 v3, v3, 9, 0x7c00
	s_wait_alu 0xfffd
	v_cndmask_b32_e64 v7, 0, 1, vcc_lo
	v_cmp_lt_i32_e32 vcc_lo, 5, v17
	v_sub_nc_u32_e32 v17, 0x3f1, v22
	s_wait_alu 0xf1ff
	v_cndmask_b32_e64 v20, v20, v3, s1
	v_and_or_b32 v7, 0xffe, v21, v7
	v_lshrrev_b32_e32 v3, 2, v19
	v_med3_i32 v17, v17, 0, 13
	s_or_b32 vcc_lo, s0, vcc_lo
	v_lshrrev_b32_e32 v21, 16, v4
	v_or_b32_e32 v14, 0x1000, v7
	s_wait_alu 0xfffe
	v_add_co_ci_u32_e32 v3, vcc_lo, 0, v3, vcc_lo
	v_cmp_gt_i32_e32 vcc_lo, 31, v16
	v_and_or_b32 v20, 0x8000, v21, v20
	v_lshrrev_b32_e32 v19, v17, v14
	s_wait_alu 0xfffd
	v_cndmask_b32_e32 v23, 0x7c00, v3, vcc_lo
	v_cmp_ne_u32_e32 vcc_lo, 0, v1
	s_delay_alu instid0(VALU_DEP_3)
	v_lshlrev_b32_e32 v4, v17, v19
	v_fma_f16 v3, v52, v18, -v13
	v_and_or_b32 v9, 0x1ff, v10, v9
	v_add_nc_u32_e32 v17, 0xfffffc10, v22
	s_wait_alu 0xfffd
	v_cndmask_b32_e64 v1, 0, 1, vcc_lo
	v_cmp_ne_u32_e32 vcc_lo, v4, v14
	v_cvt_f32_f16_e32 v3, v3
	v_lshrrev_b32_e32 v14, 8, v10
	v_bfe_u32 v18, v10, 20, 11
	v_mul_f64_e32 v[11:12], s[8:9], v[11:12]
	s_wait_alu 0xfffd
	v_cndmask_b32_e64 v13, 0, 1, vcc_lo
	v_cmp_ne_u32_e32 vcc_lo, 0, v9
	v_cvt_f64_f32_e32 v[3:4], v3
	v_lshl_or_b32 v1, v1, 9, 0x7c00
	v_and_b32_e32 v20, 0xffff, v20
	v_or_b32_e32 v13, v19, v13
	s_wait_alu 0xfffd
	v_cndmask_b32_e64 v9, 0, 1, vcc_lo
	v_lshl_or_b32 v19, v17, 12, v7
	v_cmp_gt_i32_e32 vcc_lo, 1, v17
	v_lshrrev_b32_e32 v10, 16, v10
	s_delay_alu instid0(VALU_DEP_4)
	v_and_or_b32 v9, 0xffe, v14, v9
	v_sub_nc_u32_e32 v14, 0x3f1, v18
	s_wait_alu 0xfffd
	v_cndmask_b32_e32 v19, v19, v13, vcc_lo
	v_cmp_eq_u32_e32 vcc_lo, 0x40f, v16
	v_add_nc_u32_e32 v18, 0xfffffc10, v18
	v_or_b32_e32 v22, 0x1000, v9
	v_med3_i32 v24, v14, 0, 13
	ds_load_2addr_b32 v[13:14], v0 offset0:84 offset1:118
	s_wait_alu 0xfffd
	v_cndmask_b32_e32 v1, v23, v1, vcc_lo
	v_and_b32_e32 v21, 7, v19
	v_lshrrev_b32_e32 v16, v24, v22
	s_delay_alu instid0(VALU_DEP_3) | instskip(NEXT) | instid1(VALU_DEP_3)
	v_and_or_b32 v15, 0x8000, v2, v1
	v_cmp_lt_i32_e32 vcc_lo, 5, v21
	v_cmp_eq_u32_e64 s0, 3, v21
	s_delay_alu instid0(VALU_DEP_4) | instskip(SKIP_2) | instid1(VALU_DEP_4)
	v_lshlrev_b32_e32 v1, v24, v16
	v_lshrrev_b32_e32 v2, 2, v19
	v_lshl_or_b32 v20, v15, 16, v20
	s_or_b32 vcc_lo, s0, vcc_lo
	s_delay_alu instid0(VALU_DEP_3)
	v_cmp_ne_u32_e64 s1, v1, v22
	s_wait_alu 0xfffe
	v_add_co_ci_u32_e32 v19, vcc_lo, 0, v2, vcc_lo
	v_cmp_ne_u32_e32 vcc_lo, 0, v7
	v_lshl_or_b32 v22, v18, 12, v9
	s_wait_alu 0xf1ff
	v_cndmask_b32_e64 v1, 0, 1, s1
	s_wait_dscnt 0x0
	v_lshrrev_b32_e32 v21, 16, v13
	v_cmp_eq_u32_e64 s1, 0x40f, v17
	s_wait_alu 0xfffd
	v_cndmask_b32_e64 v7, 0, 1, vcc_lo
	v_cmp_gt_i32_e32 vcc_lo, 1, v18
	v_or_b32_e32 v16, v16, v1
	v_mul_f64_e32 v[1:2], s[8:9], v[3:4]
	v_mul_f16_e32 v3, v51, v21
	v_and_or_b32 v4, 0x1ff, v12, v11
	v_lshl_or_b32 v7, v7, 9, 0x7c00
	s_wait_alu 0xfffd
	v_cndmask_b32_e32 v16, v22, v16, vcc_lo
	v_cmp_gt_i32_e32 vcc_lo, 31, v17
	v_fmac_f16_e32 v3, v49, v13
	v_lshrrev_b32_e32 v23, 8, v12
	v_bfe_u32 v24, v12, 20, 11
	v_lshrrev_b32_e32 v12, 16, v12
	s_wait_alu 0xfffd
	v_cndmask_b32_e32 v11, 0x7c00, v19, vcc_lo
	v_cmp_ne_u32_e32 vcc_lo, 0, v4
	v_cvt_f32_f16_e32 v3, v3
	v_and_b32_e32 v19, 7, v16
	s_wait_alu 0xf1ff
	v_cndmask_b32_e64 v7, v11, v7, s1
	s_wait_alu 0xfffd
	v_cndmask_b32_e64 v22, 0, 1, vcc_lo
	v_cvt_f64_f32_e32 v[3:4], v3
	v_cmp_lt_i32_e32 vcc_lo, 5, v19
	v_cmp_eq_u32_e64 s0, 3, v19
	v_lshrrev_b32_e32 v11, 2, v16
	v_and_or_b32 v19, 0xffe, v23, v22
	v_sub_nc_u32_e32 v22, 0x3f1, v24
	v_and_or_b32 v15, 0x8000, v8, v7
	s_or_b32 vcc_lo, s0, vcc_lo
	v_mul_f16_e32 v8, v51, v13
	s_wait_alu 0xfffe
	v_add_co_ci_u32_e32 v11, vcc_lo, 0, v11, vcc_lo
	v_or_b32_e32 v16, 0x1000, v19
	v_med3_i32 v17, v22, 0, 13
	v_cmp_ne_u32_e32 vcc_lo, 0, v9
	v_fma_f16 v8, v49, v21, -v8
	s_delay_alu instid0(VALU_DEP_3)
	v_lshrrev_b32_e32 v22, v17, v16
	s_wait_alu 0xfffd
	v_cndmask_b32_e64 v9, 0, 1, vcc_lo
	v_cmp_gt_i32_e32 vcc_lo, 31, v18
	v_and_or_b32 v1, 0x1ff, v2, v1
	v_lshlrev_b32_e32 v7, v17, v22
	s_delay_alu instid0(VALU_DEP_4)
	v_lshl_or_b32 v9, v9, 9, 0x7c00
	s_wait_alu 0xfffd
	v_cndmask_b32_e32 v11, 0x7c00, v11, vcc_lo
	v_cmp_eq_u32_e32 vcc_lo, 0x40f, v18
	v_bfe_u32 v13, v2, 20, 11
	v_add_nc_u32_e32 v17, 0xfffffc10, v24
	s_wait_alu 0xfffd
	v_cndmask_b32_e32 v9, v11, v9, vcc_lo
	v_cmp_ne_u32_e32 vcc_lo, v7, v16
	v_lshrrev_b32_e32 v11, 8, v2
	v_lshl_or_b32 v18, v17, 12, v19
	s_delay_alu instid0(VALU_DEP_4)
	v_and_or_b32 v9, 0x8000, v10, v9
	s_wait_alu 0xfffd
	v_cndmask_b32_e64 v7, 0, 1, vcc_lo
	v_cmp_ne_u32_e32 vcc_lo, 0, v1
	v_mul_f64_e32 v[3:4], s[8:9], v[3:4]
	v_and_b32_e32 v10, 0xffff, v15
	s_delay_alu instid0(VALU_DEP_4) | instskip(SKIP_4) | instid1(VALU_DEP_3)
	v_or_b32_e32 v16, v22, v7
	s_wait_alu 0xfffd
	v_cndmask_b32_e64 v1, 0, 1, vcc_lo
	v_cvt_f32_f16_e32 v7, v8
	v_cmp_gt_i32_e32 vcc_lo, 1, v17
	v_and_or_b32 v1, 0xffe, v11, v1
	v_sub_nc_u32_e32 v11, 0x3f1, v13
	s_delay_alu instid0(VALU_DEP_4)
	v_cvt_f64_f32_e32 v[7:8], v7
	s_wait_alu 0xfffd
	v_cndmask_b32_e32 v15, v18, v16, vcc_lo
	v_add_co_u32 v5, vcc_lo, v5, s2
	v_or_b32_e32 v21, 0x1000, v1
	v_med3_i32 v11, v11, 0, 13
	s_wait_alu 0xfffd
	v_add_co_ci_u32_e32 v6, vcc_lo, s3, v6, vcc_lo
	v_and_b32_e32 v22, 7, v15
	v_lshl_or_b32 v18, v9, 16, v10
	v_lshrrev_b32_e32 v16, v11, v21
	v_add_co_u32 v9, vcc_lo, v5, s2
	s_wait_alu 0xfffd
	v_add_co_ci_u32_e32 v10, vcc_lo, s3, v6, vcc_lo
	s_delay_alu instid0(VALU_DEP_3)
	v_lshlrev_b32_e32 v11, v11, v16
	v_cmp_lt_i32_e32 vcc_lo, 5, v22
	v_cmp_eq_u32_e64 s0, 3, v22
	v_lshrrev_b32_e32 v15, 2, v15
	v_add_nc_u32_e32 v13, 0xfffffc10, v13
	v_cmp_ne_u32_e64 s1, v11, v21
	v_lshrrev_b32_e32 v21, 16, v14
	s_or_b32 vcc_lo, s0, vcc_lo
	s_wait_alu 0xfffe
	v_add_co_ci_u32_e32 v15, vcc_lo, 0, v15, vcc_lo
	v_cndmask_b32_e64 v11, 0, 1, s1
	v_cmp_ne_u32_e32 vcc_lo, 0, v19
	v_mul_f16_e32 v22, v50, v21
	v_and_or_b32 v3, 0x1ff, v4, v3
	v_lshrrev_b32_e32 v24, 8, v4
	v_or_b32_e32 v11, v16, v11
	v_lshl_or_b32 v16, v13, 12, v1
	s_wait_alu 0xfffd
	v_cndmask_b32_e64 v19, 0, 1, vcc_lo
	v_cmp_gt_i32_e32 vcc_lo, 1, v13
	v_fmac_f16_e32 v22, v48, v14
	v_bfe_u32 v25, v4, 20, 11
	v_mul_f16_e32 v14, v50, v14
	v_mul_f64_e32 v[7:8], s[8:9], v[7:8]
	s_wait_alu 0xfffd
	v_cndmask_b32_e32 v11, v16, v11, vcc_lo
	v_cmp_gt_i32_e32 vcc_lo, 31, v17
	v_lshl_or_b32 v19, v19, 9, 0x7c00
	v_fma_f16 v14, v48, v21, -v14
	s_wait_alu 0xfffd
	v_cndmask_b32_e32 v23, 0x7c00, v15, vcc_lo
	v_cvt_f32_f16_e32 v15, v22
	v_cmp_ne_u32_e32 vcc_lo, 0, v3
	v_and_b32_e32 v22, 7, v11
	v_lshrrev_b32_e32 v11, 2, v11
	v_cvt_f32_f16_e32 v14, v14
	v_cvt_f64_f32_e32 v[15:16], v15
	s_wait_alu 0xfffd
	v_cndmask_b32_e64 v3, 0, 1, vcc_lo
	v_cmp_eq_u32_e32 vcc_lo, 0x40f, v17
	v_cmp_eq_u32_e64 s0, 3, v22
	s_delay_alu instid0(VALU_DEP_3)
	v_and_or_b32 v3, 0xffe, v24, v3
	s_wait_alu 0xfffd
	v_cndmask_b32_e32 v17, v23, v19, vcc_lo
	v_cmp_lt_i32_e32 vcc_lo, 5, v22
	v_sub_nc_u32_e32 v19, 0x3f1, v25
	v_or_b32_e32 v22, 0x1000, v3
	s_delay_alu instid0(VALU_DEP_4) | instskip(SKIP_1) | instid1(VALU_DEP_3)
	v_and_or_b32 v17, 0x8000, v12, v17
	s_or_b32 vcc_lo, s0, vcc_lo
	v_med3_i32 v19, v19, 0, 13
	s_wait_alu 0xfffe
	v_add_co_ci_u32_e32 v11, vcc_lo, 0, v11, vcc_lo
	v_cmp_ne_u32_e32 vcc_lo, 0, v1
	v_and_b32_e32 v17, 0xffff, v17
	v_lshrrev_b32_e32 v21, v19, v22
	s_wait_alu 0xfffd
	v_cndmask_b32_e64 v1, 0, 1, vcc_lo
	v_cmp_gt_i32_e32 vcc_lo, 31, v13
	v_bfe_u32 v26, v8, 20, 11
	s_delay_alu instid0(VALU_DEP_3)
	v_lshl_or_b32 v1, v1, 9, 0x7c00
	s_wait_alu 0xfffd
	v_cndmask_b32_e32 v23, 0x7c00, v11, vcc_lo
	v_cvt_f64_f32_e32 v[11:12], v14
	v_lshlrev_b32_e32 v14, v19, v21
	v_cmp_eq_u32_e32 vcc_lo, 0x40f, v13
	s_wait_alu 0xfffd
	v_cndmask_b32_e32 v19, v23, v1, vcc_lo
	v_and_or_b32 v1, 0x1ff, v8, v7
	v_cmp_ne_u32_e32 vcc_lo, v14, v22
	v_lshrrev_b32_e32 v7, 16, v2
	v_add_nc_u32_e32 v23, 0xfffffc10, v25
	v_lshrrev_b32_e32 v25, 8, v8
	ds_load_2addr_b32 v[13:14], v0 offset0:152 offset1:186
	s_wait_alu 0xfffd
	v_cndmask_b32_e64 v22, 0, 1, vcc_lo
	v_cmp_ne_u32_e32 vcc_lo, 0, v1
	v_mul_f64_e32 v[1:2], s[8:9], v[15:16]
	v_and_or_b32 v7, 0x8000, v7, v19
	v_lshl_or_b32 v16, v23, 12, v3
	v_or_b32_e32 v15, v21, v22
	s_wait_alu 0xfffd
	v_cndmask_b32_e64 v24, 0, 1, vcc_lo
	v_sub_nc_u32_e32 v21, 0x3f1, v26
	v_cmp_gt_i32_e32 vcc_lo, 1, v23
	global_store_b32 v[5:6], v20, off
	global_store_b32 v[9:10], v18, off
	v_lshl_or_b32 v7, v7, 16, v17
	v_and_or_b32 v19, 0xffe, v25, v24
	v_med3_i32 v21, v21, 0, 13
	s_wait_alu 0xfffd
	v_cndmask_b32_e32 v15, v16, v15, vcc_lo
	v_add_co_u32 v5, vcc_lo, v9, s2
	v_or_b32_e32 v16, 0x1000, v19
	s_wait_alu 0xfffd
	v_add_co_ci_u32_e32 v6, vcc_lo, s3, v10, vcc_lo
	v_and_b32_e32 v17, 7, v15
	s_wait_dscnt 0x0
	v_lshrrev_b32_e32 v20, 16, v13
	v_lshrrev_b32_e32 v18, v21, v16
	;; [unrolled: 1-line block ×3, first 2 shown]
	global_store_b32 v[5:6], v7, off
	v_cmp_lt_i32_e32 vcc_lo, 5, v17
	v_cmp_eq_u32_e64 s0, 3, v17
	v_lshlrev_b32_e32 v21, v21, v18
	v_mul_f64_e32 v[9:10], s[8:9], v[11:12]
	v_lshrrev_b32_e32 v12, 2, v15
	v_mul_f16_e32 v11, v47, v20
	s_or_b32 vcc_lo, s0, vcc_lo
	v_cmp_ne_u32_e64 s1, v21, v16
	v_add_nc_u32_e32 v16, 0xfffffc10, v26
	s_wait_alu 0xfffe
	v_add_co_ci_u32_e32 v17, vcc_lo, 0, v12, vcc_lo
	v_cmp_ne_u32_e32 vcc_lo, 0, v3
	s_wait_alu 0xf1ff
	v_cndmask_b32_e64 v15, 0, 1, s1
	v_fmac_f16_e32 v11, v46, v13
	v_mul_f16_e32 v13, v47, v13
	v_and_or_b32 v1, 0x1ff, v2, v1
	s_delay_alu instid0(VALU_DEP_4)
	v_or_b32_e32 v15, v18, v15
	v_lshl_or_b32 v18, v16, 12, v19
	s_wait_alu 0xfffd
	v_cndmask_b32_e64 v3, 0, 1, vcc_lo
	v_cmp_gt_i32_e32 vcc_lo, 1, v16
	v_cvt_f32_f16_e32 v11, v11
	v_bfe_u32 v21, v2, 20, 11
	v_fma_f16 v13, v46, v20, -v13
	v_lshl_or_b32 v3, v3, 9, 0x7c00
	s_wait_alu 0xfffd
	v_cndmask_b32_e32 v15, v18, v15, vcc_lo
	v_cmp_ne_u32_e32 vcc_lo, 0, v1
	v_cvt_f64_f32_e32 v[11:12], v11
	v_lshrrev_b32_e32 v18, 8, v2
	v_cvt_f32_f16_e32 v13, v13
	v_and_b32_e32 v22, 7, v15
	s_wait_alu 0xfffd
	v_cndmask_b32_e64 v1, 0, 1, vcc_lo
	v_cmp_gt_i32_e32 vcc_lo, 31, v23
	v_lshrrev_b32_e32 v2, 16, v2
	v_cmp_eq_u32_e64 s0, 3, v22
	s_delay_alu instid0(VALU_DEP_4)
	v_and_or_b32 v1, 0xffe, v18, v1
	s_wait_alu 0xfffd
	v_cndmask_b32_e32 v17, 0x7c00, v17, vcc_lo
	v_sub_nc_u32_e32 v18, 0x3f1, v21
	v_cmp_eq_u32_e32 vcc_lo, 0x40f, v23
	v_lshrrev_b32_e32 v23, 16, v4
	v_lshrrev_b32_e32 v4, 2, v15
	v_and_or_b32 v9, 0x1ff, v10, v9
	v_med3_i32 v18, v18, 0, 13
	s_wait_alu 0xfffd
	v_cndmask_b32_e32 v17, v17, v3, vcc_lo
	v_or_b32_e32 v3, 0x1000, v1
	v_cmp_lt_i32_e32 vcc_lo, 5, v22
	v_bfe_u32 v20, v10, 20, 11
	v_add_nc_u32_e32 v21, 0xfffffc10, v21
	v_and_or_b32 v7, 0x8000, v23, v17
	v_lshrrev_b32_e32 v15, v18, v3
	s_or_b32 vcc_lo, s0, vcc_lo
	v_add_nc_u32_e32 v17, 0xfffffc10, v20
	s_wait_alu 0xfffe
	v_add_co_ci_u32_e32 v22, vcc_lo, 0, v4, vcc_lo
	v_lshlrev_b32_e32 v4, v18, v15
	v_cmp_ne_u32_e32 vcc_lo, 0, v9
	v_lshrrev_b32_e32 v18, 8, v10
	s_wait_alu 0xfffd
	v_cndmask_b32_e64 v9, 0, 1, vcc_lo
	v_cmp_ne_u32_e32 vcc_lo, v4, v3
	v_mul_f64_e32 v[3:4], s[8:9], v[11:12]
	s_delay_alu instid0(VALU_DEP_3)
	v_and_or_b32 v9, 0xffe, v18, v9
	s_wait_alu 0xfffd
	v_cndmask_b32_e64 v24, 0, 1, vcc_lo
	v_cmp_ne_u32_e32 vcc_lo, 0, v19
	v_sub_nc_u32_e32 v18, 0x3f1, v20
	v_cvt_f64_f32_e32 v[11:12], v13
	v_lshl_or_b32 v19, v21, 12, v1
	v_or_b32_e32 v15, v15, v24
	s_wait_alu 0xfffd
	v_cndmask_b32_e64 v13, 0, 1, vcc_lo
	v_cmp_gt_i32_e32 vcc_lo, 31, v16
	v_or_b32_e32 v24, 0x1000, v9
	v_med3_i32 v18, v18, 0, 13
	s_delay_alu instid0(VALU_DEP_4)
	v_lshl_or_b32 v13, v13, 9, 0x7c00
	s_wait_alu 0xfffd
	v_cndmask_b32_e32 v22, 0x7c00, v22, vcc_lo
	v_cmp_gt_i32_e32 vcc_lo, 1, v21
	s_wait_alu 0xfffd
	v_cndmask_b32_e32 v15, v19, v15, vcc_lo
	v_lshrrev_b32_e32 v19, v18, v24
	v_cmp_eq_u32_e32 vcc_lo, 0x40f, v16
	s_delay_alu instid0(VALU_DEP_3) | instskip(NEXT) | instid1(VALU_DEP_3)
	v_and_b32_e32 v16, 7, v15
	v_lshlrev_b32_e32 v18, v18, v19
	s_wait_alu 0xfffd
	v_cndmask_b32_e32 v13, v22, v13, vcc_lo
	s_delay_alu instid0(VALU_DEP_3) | instskip(NEXT) | instid1(VALU_DEP_3)
	v_cmp_lt_i32_e32 vcc_lo, 5, v16
	v_cmp_ne_u32_e64 s0, v18, v24
	s_delay_alu instid0(VALU_DEP_3) | instskip(SKIP_1) | instid1(VALU_DEP_2)
	v_and_or_b32 v13, 0x8000, v8, v13
	s_wait_alu 0xf1ff
	v_cndmask_b32_e64 v8, 0, 1, s0
	v_cmp_eq_u32_e64 s0, 3, v16
	v_and_b32_e32 v16, 0xffff, v7
	v_lshrrev_b32_e32 v7, 2, v15
	v_lshl_or_b32 v15, v17, 12, v9
	v_or_b32_e32 v8, v19, v8
	s_or_b32 vcc_lo, s0, vcc_lo
	v_lshrrev_b32_e32 v19, 16, v14
	s_wait_alu 0xfffe
	v_add_co_ci_u32_e32 v18, vcc_lo, 0, v7, vcc_lo
	v_cmp_ne_u32_e32 vcc_lo, 0, v1
	v_and_or_b32 v3, 0x1ff, v4, v3
	v_lshrrev_b32_e32 v20, 8, v4
	v_bfe_u32 v22, v4, 20, 11
	v_lshl_or_b32 v16, v13, 16, v16
	s_wait_alu 0xfffd
	v_cndmask_b32_e64 v1, 0, 1, vcc_lo
	v_cmp_gt_i32_e32 vcc_lo, 1, v17
	v_lshrrev_b32_e32 v4, 16, v4
	s_delay_alu instid0(VALU_DEP_3)
	v_lshl_or_b32 v1, v1, 9, 0x7c00
	s_wait_alu 0xfffd
	v_cndmask_b32_e32 v15, v15, v8, vcc_lo
	v_cmp_gt_i32_e32 vcc_lo, 31, v21
	v_mul_f64_e32 v[7:8], s[8:9], v[11:12]
	v_mul_f16_e32 v12, v45, v19
	s_wait_alu 0xfffd
	v_cndmask_b32_e32 v11, 0x7c00, v18, vcc_lo
	v_cmp_ne_u32_e32 vcc_lo, 0, v3
	s_delay_alu instid0(VALU_DEP_3)
	v_fmac_f16_e32 v12, v44, v14
	v_and_b32_e32 v18, 7, v15
	v_lshrrev_b32_e32 v15, 2, v15
	s_wait_alu 0xfffd
	v_cndmask_b32_e64 v3, 0, 1, vcc_lo
	v_cmp_eq_u32_e32 vcc_lo, 0x40f, v21
	v_cmp_eq_u32_e64 s0, 3, v18
	s_delay_alu instid0(VALU_DEP_3)
	v_and_or_b32 v3, 0xffe, v20, v3
	s_wait_alu 0xfffd
	v_cndmask_b32_e32 v1, v11, v1, vcc_lo
	v_cvt_f32_f16_e32 v11, v12
	v_cmp_lt_i32_e32 vcc_lo, 5, v18
	v_sub_nc_u32_e32 v20, 0x3f1, v22
	v_or_b32_e32 v18, 0x1000, v3
	v_and_or_b32 v23, 0x8000, v2, v1
	v_cvt_f64_f32_e32 v[11:12], v11
	s_or_b32 vcc_lo, s0, vcc_lo
	v_med3_i32 v20, v20, 0, 13
	s_wait_alu 0xfffe
	v_add_co_ci_u32_e32 v15, vcc_lo, 0, v15, vcc_lo
	v_cmp_ne_u32_e32 vcc_lo, 0, v9
	v_mul_f16_e32 v1, v45, v14
	v_lshrrev_b32_e32 v21, v20, v18
	s_wait_alu 0xfffd
	v_cndmask_b32_e64 v9, 0, 1, vcc_lo
	v_cmp_gt_i32_e32 vcc_lo, 31, v17
	s_delay_alu instid0(VALU_DEP_3) | instskip(SKIP_1) | instid1(VALU_DEP_4)
	v_lshlrev_b32_e32 v2, v20, v21
	v_fma_f16 v1, v44, v19, -v1
	v_lshl_or_b32 v9, v9, 9, 0x7c00
	s_wait_alu 0xfffd
	v_cndmask_b32_e32 v15, 0x7c00, v15, vcc_lo
	v_cmp_eq_u32_e32 vcc_lo, 0x40f, v17
	v_and_or_b32 v7, 0x1ff, v8, v7
	v_cvt_f32_f16_e32 v1, v1
	s_wait_alu 0xfffd
	v_dual_cndmask_b32 v14, v15, v9 :: v_dual_add_nc_u32 v17, 0xfffffc10, v22
	v_cmp_ne_u32_e32 vcc_lo, v2, v18
	s_delay_alu instid0(VALU_DEP_3)
	v_cvt_f64_f32_e32 v[1:2], v1
	v_lshrrev_b32_e32 v15, 16, v10
	v_lshrrev_b32_e32 v10, 8, v8
	v_bfe_u32 v18, v8, 20, 11
	s_wait_alu 0xfffd
	v_cndmask_b32_e64 v9, 0, 1, vcc_lo
	v_cmp_ne_u32_e32 vcc_lo, 0, v7
	v_lshl_or_b32 v20, v17, 12, v3
	v_and_or_b32 v13, 0x8000, v15, v14
	v_and_b32_e32 v14, 0xffff, v23
	v_or_b32_e32 v19, v21, v9
	s_wait_alu 0xfffd
	v_cndmask_b32_e64 v7, 0, 1, vcc_lo
	v_cmp_gt_i32_e32 vcc_lo, 1, v17
	v_lshl_or_b32 v22, v13, 16, v14
	v_mul_f64_e32 v[11:12], s[8:9], v[11:12]
	s_delay_alu instid0(VALU_DEP_4)
	v_and_or_b32 v7, 0xffe, v10, v7
	ds_load_2addr_b32 v[9:10], v0 offset0:220 offset1:254
	v_sub_nc_u32_e32 v0, 0x3f1, v18
	s_wait_alu 0xfffd
	v_cndmask_b32_e32 v19, v20, v19, vcc_lo
	v_add_co_u32 v5, vcc_lo, v5, s2
	v_or_b32_e32 v20, 0x1000, v7
	v_med3_i32 v0, v0, 0, 13
	s_delay_alu instid0(VALU_DEP_4)
	v_and_b32_e32 v15, 7, v19
	s_wait_alu 0xfffd
	v_add_co_ci_u32_e32 v6, vcc_lo, s3, v6, vcc_lo
	v_lshrrev_b32_e32 v13, 2, v19
	v_lshrrev_b32_e32 v21, v0, v20
	v_cmp_lt_i32_e32 vcc_lo, 5, v15
	v_cmp_eq_u32_e64 s0, 3, v15
	v_add_nc_u32_e32 v18, 0xfffffc10, v18
	s_delay_alu instid0(VALU_DEP_4) | instskip(NEXT) | instid1(VALU_DEP_3)
	v_lshlrev_b32_e32 v0, v0, v21
	s_or_b32 vcc_lo, s0, vcc_lo
	s_wait_dscnt 0x0
	v_lshrrev_b32_e32 v15, 16, v9
	s_delay_alu instid0(VALU_DEP_2)
	v_cmp_ne_u32_e64 s1, v0, v20
	s_wait_alu 0xfffe
	v_add_co_ci_u32_e32 v13, vcc_lo, 0, v13, vcc_lo
	v_cmp_ne_u32_e32 vcc_lo, 0, v3
	v_mul_f16_e32 v14, v43, v15
	s_wait_alu 0xf1ff
	v_cndmask_b32_e64 v0, 0, 1, s1
	v_lshl_or_b32 v20, v18, 12, v7
	s_wait_alu 0xfffd
	v_cndmask_b32_e64 v3, 0, 1, vcc_lo
	v_fmac_f16_e32 v14, v42, v9
	v_or_b32_e32 v19, v21, v0
	v_mul_f64_e32 v[0:1], s[8:9], v[1:2]
	v_cmp_gt_i32_e32 vcc_lo, 1, v18
	v_lshl_or_b32 v21, v3, 9, 0x7c00
	v_cvt_f32_f16_e32 v2, v14
	v_and_or_b32 v11, 0x1ff, v12, v11
	s_wait_alu 0xfffd
	v_cndmask_b32_e32 v19, v20, v19, vcc_lo
	v_cmp_gt_i32_e32 vcc_lo, 31, v17
	v_cvt_f64_f32_e32 v[2:3], v2
	v_cmp_ne_u32_e64 s0, 0, v11
	s_wait_alu 0xfffd
	v_dual_cndmask_b32 v20, 0x7c00, v13 :: v_dual_and_b32 v23, 7, v19
	v_add_co_u32 v13, vcc_lo, v5, s2
	s_wait_alu 0xfffd
	v_add_co_ci_u32_e32 v14, vcc_lo, s3, v6, vcc_lo
	v_cmp_eq_u32_e32 vcc_lo, 0x40f, v17
	s_wait_alu 0xf1ff
	v_cndmask_b32_e64 v11, 0, 1, s0
	v_cmp_eq_u32_e64 s0, 3, v23
	v_lshrrev_b32_e32 v19, 2, v19
	global_store_b32 v[5:6], v16, off
	global_store_b32 v[13:14], v22, off
	s_wait_alu 0xfffd
	v_cndmask_b32_e32 v17, v20, v21, vcc_lo
	v_cmp_lt_i32_e32 vcc_lo, 5, v23
	v_lshrrev_b32_e32 v20, 8, v12
	v_bfe_u32 v21, v12, 20, 11
	v_lshrrev_b32_e32 v12, 16, v12
	v_and_or_b32 v4, 0x8000, v4, v17
	s_or_b32 vcc_lo, s0, vcc_lo
	v_and_or_b32 v11, 0xffe, v20, v11
	s_wait_alu 0xfffe
	v_add_co_ci_u32_e32 v19, vcc_lo, 0, v19, vcc_lo
	v_cmp_ne_u32_e32 vcc_lo, 0, v7
	v_sub_nc_u32_e32 v20, 0x3f1, v21
	v_or_b32_e32 v23, 0x1000, v11
	v_and_b32_e32 v4, 0xffff, v4
	s_wait_alu 0xfffd
	v_cndmask_b32_e64 v7, 0, 1, vcc_lo
	v_cmp_gt_i32_e32 vcc_lo, 31, v18
	v_med3_i32 v20, v20, 0, 13
	v_and_or_b32 v0, 0x1ff, v1, v0
	s_delay_alu instid0(VALU_DEP_4)
	v_lshl_or_b32 v7, v7, 9, 0x7c00
	s_wait_alu 0xfffd
	v_cndmask_b32_e32 v19, 0x7c00, v19, vcc_lo
	v_cmp_eq_u32_e32 vcc_lo, 0x40f, v18
	v_lshrrev_b32_e32 v17, v20, v23
	v_mul_f64_e32 v[2:3], s[8:9], v[2:3]
	s_wait_alu 0xfffd
	s_delay_alu instid0(VALU_DEP_2)
	v_dual_cndmask_b32 v18, v19, v7 :: v_dual_lshlrev_b32 v7, v20, v17
	v_cmp_ne_u32_e32 vcc_lo, 0, v0
	v_lshrrev_b32_e32 v19, 16, v8
	v_mul_f16_e32 v8, v43, v9
	v_lshrrev_b32_e32 v9, 8, v1
	v_bfe_u32 v20, v1, 20, 11
	s_wait_alu 0xfffd
	v_cndmask_b32_e64 v0, 0, 1, vcc_lo
	v_cmp_ne_u32_e32 vcc_lo, v7, v23
	v_fma_f16 v8, v42, v15, -v8
	v_add_nc_u32_e32 v15, 0xfffffc10, v21
	v_and_or_b32 v18, 0x8000, v19, v18
	v_and_or_b32 v0, 0xffe, v9, v0
	v_sub_nc_u32_e32 v9, 0x3f1, v20
	s_wait_alu 0xfffd
	v_cndmask_b32_e64 v7, 0, 1, vcc_lo
	v_cvt_f32_f16_e32 v8, v8
	v_lshl_or_b32 v21, v15, 12, v11
	v_or_b32_e32 v23, 0x1000, v0
	v_med3_i32 v9, v9, 0, 13
	v_or_b32_e32 v17, v17, v7
	v_cvt_f64_f32_e32 v[7:8], v8
	v_cmp_gt_i32_e32 vcc_lo, 1, v15
	v_lshl_or_b32 v16, v18, 16, v4
	v_lshrrev_b32_e32 v19, v9, v23
	v_lshrrev_b32_e32 v18, 16, v10
	s_wait_alu 0xfffd
	v_dual_cndmask_b32 v17, v21, v17 :: v_dual_add_nc_u32 v20, 0xfffffc10, v20
	v_add_co_u32 v4, vcc_lo, v13, s2
	v_lshlrev_b32_e32 v9, v9, v19
	s_wait_alu 0xfffd
	v_add_co_ci_u32_e32 v5, vcc_lo, s3, v14, vcc_lo
	v_and_b32_e32 v6, 7, v17
	v_mul_f16_e32 v13, v41, v18
	v_cmp_ne_u32_e64 s0, v9, v23
	v_lshl_or_b32 v14, v20, 12, v0
	v_and_or_b32 v2, 0x1ff, v3, v2
	v_cmp_lt_i32_e32 vcc_lo, 5, v6
	v_fmac_f16_e32 v13, v38, v10
	s_wait_alu 0xf1ff
	v_cndmask_b32_e64 v9, 0, 1, s0
	v_cmp_eq_u32_e64 s0, 3, v6
	v_lshrrev_b32_e32 v6, 2, v17
	v_bfe_u32 v21, v3, 20, 11
	v_cmp_eq_u32_e64 s1, 0x40f, v15
	v_or_b32_e32 v9, v19, v9
	s_or_b32 vcc_lo, s0, vcc_lo
	v_lshrrev_b32_e32 v19, 8, v3
	s_wait_alu 0xfffe
	v_add_co_ci_u32_e32 v17, vcc_lo, 0, v6, vcc_lo
	v_cmp_gt_i32_e32 vcc_lo, 1, v20
	v_cvt_f32_f16_e32 v6, v13
	v_mul_f16_e32 v10, v41, v10
	v_lshrrev_b32_e32 v1, 16, v1
	s_wait_alu 0xfffd
	v_cndmask_b32_e32 v9, v14, v9, vcc_lo
	v_cmp_ne_u32_e32 vcc_lo, 0, v2
	v_cvt_f64_f32_e32 v[13:14], v6
	v_fma_f16 v10, v38, v18, -v10
	v_mul_f64_e32 v[6:7], s[8:9], v[7:8]
	s_wait_alu 0xfffd
	v_cndmask_b32_e64 v2, 0, 1, vcc_lo
	v_cmp_ne_u32_e32 vcc_lo, 0, v11
	v_and_b32_e32 v11, 7, v9
	v_lshrrev_b32_e32 v9, 2, v9
	v_cvt_f32_f16_e32 v10, v10
	v_and_or_b32 v2, 0xffe, v19, v2
	s_wait_alu 0xfffd
	v_cndmask_b32_e64 v8, 0, 1, vcc_lo
	v_cmp_gt_i32_e32 vcc_lo, 31, v15
	v_sub_nc_u32_e32 v19, 0x3f1, v21
	v_cmp_eq_u32_e64 s0, 3, v11
	v_or_b32_e32 v22, 0x1000, v2
	v_lshl_or_b32 v8, v8, 9, 0x7c00
	s_wait_alu 0xfffd
	v_cndmask_b32_e32 v17, 0x7c00, v17, vcc_lo
	v_cmp_lt_i32_e32 vcc_lo, 5, v11
	v_med3_i32 v19, v19, 0, 13
	s_delay_alu instid0(VALU_DEP_3) | instskip(SKIP_1) | instid1(VALU_DEP_2)
	v_cndmask_b32_e64 v8, v17, v8, s1
	s_or_b32 vcc_lo, s0, vcc_lo
	v_lshrrev_b32_e32 v11, v19, v22
	s_wait_alu 0xfffe
	v_add_co_ci_u32_e32 v9, vcc_lo, 0, v9, vcc_lo
	v_cmp_ne_u32_e32 vcc_lo, 0, v0
	v_and_or_b32 v12, 0x8000, v12, v8
	v_lshlrev_b32_e32 v15, v19, v11
	ds_load_b32 v17, v40 offset:2176
	s_wait_alu 0xfffd
	v_cndmask_b32_e64 v0, 0, 1, vcc_lo
	v_cmp_gt_i32_e32 vcc_lo, 31, v20
	v_and_b32_e32 v12, 0xffff, v12
	s_delay_alu instid0(VALU_DEP_3)
	v_lshl_or_b32 v0, v0, 9, 0x7c00
	s_wait_alu 0xfffd
	v_cndmask_b32_e32 v9, 0x7c00, v9, vcc_lo
	v_cmp_ne_u32_e32 vcc_lo, v15, v22
	v_add_nc_u32_e32 v15, 0xfffffc10, v21
	v_and_or_b32 v6, 0x1ff, v7, v6
	s_wait_alu 0xfffd
	v_cndmask_b32_e64 v8, 0, 1, vcc_lo
	v_cmp_eq_u32_e32 vcc_lo, 0x40f, v20
	s_delay_alu instid0(VALU_DEP_2)
	v_or_b32_e32 v11, v11, v8
	s_wait_alu 0xfffd
	v_cndmask_b32_e32 v0, v9, v0, vcc_lo
	v_mul_f64_e32 v[8:9], s[8:9], v[13:14]
	v_lshl_or_b32 v13, v15, 12, v2
	v_cmp_gt_i32_e32 vcc_lo, 1, v15
	v_bfe_u32 v14, v7, 20, 11
	v_and_or_b32 v18, 0x8000, v1, v0
	v_cvt_f64_f32_e32 v[0:1], v10
	s_wait_alu 0xfffd
	v_cndmask_b32_e32 v11, v13, v11, vcc_lo
	v_cmp_ne_u32_e32 vcc_lo, 0, v6
	v_lshrrev_b32_e32 v13, 8, v7
	v_sub_nc_u32_e32 v10, 0x3f1, v14
	v_lshl_or_b32 v18, v18, 16, v12
	v_and_b32_e32 v19, 7, v11
	s_wait_alu 0xfffd
	v_cndmask_b32_e64 v6, 0, 1, vcc_lo
	v_lshrrev_b32_e32 v11, 2, v11
	v_med3_i32 v10, v10, 0, 13
	v_add_nc_u32_e32 v14, 0xfffffc10, v14
	v_cmp_lt_i32_e32 vcc_lo, 5, v19
	v_and_or_b32 v6, 0xffe, v13, v6
	s_wait_dscnt 0x0
	v_lshrrev_b32_e32 v13, 16, v17
	v_cmp_eq_u32_e64 s0, 3, v19
	s_delay_alu instid0(VALU_DEP_3) | instskip(NEXT) | instid1(VALU_DEP_3)
	v_or_b32_e32 v20, 0x1000, v6
	v_mul_f16_e32 v21, v39, v13
	s_delay_alu instid0(VALU_DEP_3)
	s_or_b32 vcc_lo, s0, vcc_lo
	s_wait_alu 0xfffe
	v_add_co_ci_u32_e32 v11, vcc_lo, 0, v11, vcc_lo
	v_lshrrev_b32_e32 v12, v10, v20
	v_fmac_f16_e32 v21, v37, v17
	v_cmp_ne_u32_e32 vcc_lo, 0, v2
	v_mul_f16_e32 v17, v39, v17
	s_delay_alu instid0(VALU_DEP_4) | instskip(NEXT) | instid1(VALU_DEP_4)
	v_lshlrev_b32_e32 v19, v10, v12
	v_cvt_f32_f16_e32 v10, v21
	s_wait_alu 0xfffd
	v_cndmask_b32_e64 v2, 0, 1, vcc_lo
	v_cmp_gt_i32_e32 vcc_lo, 31, v15
	v_and_or_b32 v8, 0x1ff, v9, v8
	v_fma_f16 v13, v37, v13, -v17
	v_lshl_or_b32 v17, v14, 12, v6
	v_lshl_or_b32 v2, v2, 9, 0x7c00
	s_wait_alu 0xfffd
	v_cndmask_b32_e32 v21, 0x7c00, v11, vcc_lo
	v_cvt_f64_f32_e32 v[10:11], v10
	v_cmp_ne_u32_e32 vcc_lo, v19, v20
	v_lshrrev_b32_e32 v20, 8, v9
	v_mul_f64_e32 v[0:1], s[8:9], v[0:1]
	v_cvt_f32_f16_e32 v13, v13
	s_wait_alu 0xfffd
	v_cndmask_b32_e64 v19, 0, 1, vcc_lo
	v_cmp_ne_u32_e32 vcc_lo, 0, v8
	s_delay_alu instid0(VALU_DEP_2)
	v_or_b32_e32 v12, v12, v19
	s_wait_alu 0xfffd
	v_cndmask_b32_e64 v8, 0, 1, vcc_lo
	v_bfe_u32 v19, v9, 20, 11
	v_cmp_gt_i32_e32 vcc_lo, 1, v14
	v_lshrrev_b32_e32 v9, 16, v9
	s_delay_alu instid0(VALU_DEP_4) | instskip(NEXT) | instid1(VALU_DEP_4)
	v_and_or_b32 v8, 0xffe, v20, v8
	v_sub_nc_u32_e32 v20, 0x3f1, v19
	s_wait_alu 0xfffd
	v_cndmask_b32_e32 v17, v17, v12, vcc_lo
	v_cmp_eq_u32_e32 vcc_lo, 0x40f, v15
	v_cvt_f64_f32_e32 v[12:13], v13
	v_or_b32_e32 v22, 0x1000, v8
	v_med3_i32 v20, v20, 0, 13
	v_and_b32_e32 v23, 7, v17
	s_wait_alu 0xfffd
	v_cndmask_b32_e32 v15, v21, v2, vcc_lo
	v_add_co_u32 v2, vcc_lo, v4, s2
	v_lshrrev_b32_e32 v24, v20, v22
	v_lshrrev_b32_e32 v21, 16, v3
	s_wait_alu 0xfffd
	v_add_co_ci_u32_e32 v3, vcc_lo, s3, v5, vcc_lo
	v_cmp_lt_i32_e32 vcc_lo, 5, v23
	v_cmp_eq_u32_e64 s0, 3, v23
	v_lshrrev_b32_e32 v17, 2, v17
	v_lshlrev_b32_e32 v20, v20, v24
	v_add_nc_u32_e32 v19, 0xfffffc10, v19
	v_and_or_b32 v15, 0x8000, v21, v15
	s_or_b32 vcc_lo, s0, vcc_lo
	v_mul_f64_e32 v[10:11], s[8:9], v[10:11]
	s_wait_alu 0xfffe
	v_add_co_ci_u32_e32 v17, vcc_lo, 0, v17, vcc_lo
	v_cmp_ne_u32_e64 s1, v20, v22
	v_cmp_ne_u32_e32 vcc_lo, 0, v6
	v_lshl_or_b32 v21, v19, 12, v8
	v_and_or_b32 v0, 0x1ff, v1, v0
	v_lshrrev_b32_e32 v22, 8, v1
	s_wait_alu 0xf1ff
	v_cndmask_b32_e64 v20, 0, 1, s1
	s_wait_alu 0xfffd
	v_cndmask_b32_e64 v6, 0, 1, vcc_lo
	v_cmp_gt_i32_e32 vcc_lo, 31, v14
	s_delay_alu instid0(VALU_DEP_3) | instskip(NEXT) | instid1(VALU_DEP_3)
	v_or_b32_e32 v20, v24, v20
	v_lshl_or_b32 v6, v6, 9, 0x7c00
	s_wait_alu 0xfffd
	v_cndmask_b32_e32 v17, 0x7c00, v17, vcc_lo
	v_cmp_gt_i32_e32 vcc_lo, 1, v19
	s_wait_alu 0xfffd
	v_cndmask_b32_e32 v20, v21, v20, vcc_lo
	v_cmp_eq_u32_e32 vcc_lo, 0x40f, v14
	s_wait_alu 0xfffd
	s_delay_alu instid0(VALU_DEP_2)
	v_dual_cndmask_b32 v14, v17, v6 :: v_dual_and_b32 v21, 7, v20
	v_lshrrev_b32_e32 v17, 16, v7
	v_cmp_ne_u32_e32 vcc_lo, 0, v0
	v_mul_f64_e32 v[6:7], s[8:9], v[12:13]
	v_bfe_u32 v12, v1, 20, 11
	v_cmp_eq_u32_e64 s0, 3, v21
	v_and_or_b32 v13, 0x8000, v17, v14
	v_and_b32_e32 v14, 0xffff, v15
	s_wait_alu 0xfffd
	v_cndmask_b32_e64 v0, 0, 1, vcc_lo
	v_cmp_lt_i32_e32 vcc_lo, 5, v21
	v_sub_nc_u32_e32 v15, 0x3f1, v12
	v_and_or_b32 v10, 0x1ff, v11, v10
	v_lshl_or_b32 v13, v13, 16, v14
	v_lshrrev_b32_e32 v14, 2, v20
	v_and_or_b32 v0, 0xffe, v22, v0
	s_or_b32 vcc_lo, s0, vcc_lo
	v_med3_i32 v15, v15, 0, 13
	v_lshrrev_b32_e32 v21, 8, v11
	s_wait_alu 0xfffe
	v_add_co_ci_u32_e32 v14, vcc_lo, 0, v14, vcc_lo
	v_or_b32_e32 v17, 0x1000, v0
	v_cmp_ne_u32_e32 vcc_lo, 0, v8
	v_bfe_u32 v22, v11, 20, 11
	v_add_nc_u32_e32 v12, 0xfffffc10, v12
	v_lshrrev_b32_e32 v1, 16, v1
	v_lshrrev_b32_e32 v20, v15, v17
	s_wait_alu 0xfffd
	v_cndmask_b32_e64 v8, 0, 1, vcc_lo
	v_cmp_gt_i32_e32 vcc_lo, 31, v19
	v_lshrrev_b32_e32 v11, 16, v11
	v_lshlrev_b32_e32 v15, v15, v20
	s_delay_alu instid0(VALU_DEP_4)
	v_lshl_or_b32 v8, v8, 9, 0x7c00
	s_wait_alu 0xfffd
	v_cndmask_b32_e32 v14, 0x7c00, v14, vcc_lo
	v_cmp_ne_u32_e32 vcc_lo, 0, v10
	s_wait_alu 0xfffd
	v_cndmask_b32_e64 v10, 0, 1, vcc_lo
	v_cmp_ne_u32_e32 vcc_lo, v15, v17
	v_sub_nc_u32_e32 v17, 0x3f1, v22
	v_and_or_b32 v6, 0x1ff, v7, v6
	s_delay_alu instid0(VALU_DEP_4)
	v_and_or_b32 v10, 0xffe, v21, v10
	s_wait_alu 0xfffd
	v_cndmask_b32_e64 v15, 0, 1, vcc_lo
	v_cmp_eq_u32_e32 vcc_lo, 0x40f, v19
	v_med3_i32 v17, v17, 0, 13
	v_bfe_u32 v21, v7, 20, 11
	v_or_b32_e32 v19, 0x1000, v10
	s_wait_alu 0xfffd
	v_cndmask_b32_e32 v8, v14, v8, vcc_lo
	v_or_b32_e32 v14, v20, v15
	v_lshl_or_b32 v15, v12, 12, v0
	v_cmp_gt_i32_e32 vcc_lo, 1, v12
	v_lshrrev_b32_e32 v20, 8, v7
	v_and_or_b32 v8, 0x8000, v9, v8
	v_sub_nc_u32_e32 v9, 0x3f1, v21
	v_lshrrev_b32_e32 v7, 16, v7
	s_wait_alu 0xfffd
	v_cndmask_b32_e32 v14, v15, v14, vcc_lo
	v_lshrrev_b32_e32 v15, v17, v19
	v_cmp_ne_u32_e32 vcc_lo, 0, v6
	v_med3_i32 v9, v9, 0, 13
	v_and_b32_e32 v8, 0xffff, v8
	v_and_b32_e32 v23, 7, v14
	v_lshlrev_b32_e32 v17, v17, v15
	s_wait_alu 0xfffd
	v_cndmask_b32_e64 v6, 0, 1, vcc_lo
	v_lshrrev_b32_e32 v14, 2, v14
	v_cmp_lt_i32_e32 vcc_lo, 5, v23
	v_cmp_ne_u32_e64 s0, v17, v19
	s_delay_alu instid0(VALU_DEP_4) | instskip(SKIP_2) | instid1(VALU_DEP_3)
	v_and_or_b32 v6, 0xffe, v20, v6
	v_add_nc_u32_e32 v20, 0xfffffc10, v22
	s_wait_alu 0xf1ff
	v_cndmask_b32_e64 v17, 0, 1, s0
	v_cmp_eq_u32_e64 s0, 3, v23
	v_or_b32_e32 v19, 0x1000, v6
	v_lshl_or_b32 v22, v20, 12, v10
	s_delay_alu instid0(VALU_DEP_4) | instskip(NEXT) | instid1(VALU_DEP_4)
	v_or_b32_e32 v15, v15, v17
	s_or_b32 vcc_lo, s0, vcc_lo
	s_delay_alu instid0(VALU_DEP_3) | instskip(SKIP_3) | instid1(VALU_DEP_3)
	v_lshrrev_b32_e32 v17, v9, v19
	s_wait_alu 0xfffe
	v_add_co_ci_u32_e32 v14, vcc_lo, 0, v14, vcc_lo
	v_cmp_gt_i32_e32 vcc_lo, 1, v20
	v_lshlrev_b32_e32 v9, v9, v17
	s_wait_alu 0xfffd
	v_cndmask_b32_e32 v15, v22, v15, vcc_lo
	v_cmp_ne_u32_e32 vcc_lo, 0, v0
	s_wait_alu 0xfffd
	v_cndmask_b32_e64 v0, 0, 1, vcc_lo
	v_cmp_ne_u32_e32 vcc_lo, v9, v19
	v_add_nc_u32_e32 v19, 0xfffffc10, v21
	v_and_b32_e32 v21, 7, v15
	s_delay_alu instid0(VALU_DEP_4)
	v_lshl_or_b32 v0, v0, 9, 0x7c00
	s_wait_alu 0xfffd
	v_cndmask_b32_e64 v9, 0, 1, vcc_lo
	v_cmp_gt_i32_e32 vcc_lo, 31, v12
	v_cmp_gt_i32_e64 s1, 1, v19
	v_cmp_eq_u32_e64 s0, 3, v21
	s_delay_alu instid0(VALU_DEP_4)
	v_or_b32_e32 v9, v17, v9
	v_lshl_or_b32 v17, v19, 12, v6
	s_wait_alu 0xfffd
	v_cndmask_b32_e32 v14, 0x7c00, v14, vcc_lo
	v_cmp_lt_i32_e32 vcc_lo, 5, v21
	s_wait_alu 0xf1ff
	v_cndmask_b32_e64 v9, v17, v9, s1
	v_cmp_eq_u32_e64 s1, 0x40f, v12
	v_lshrrev_b32_e32 v12, 2, v15
	s_or_b32 vcc_lo, s0, vcc_lo
	s_delay_alu instid0(VALU_DEP_2) | instskip(SKIP_1) | instid1(VALU_DEP_2)
	v_cndmask_b32_e64 v0, v14, v0, s1
	s_wait_alu 0xfffe
	v_add_co_ci_u32_e32 v12, vcc_lo, 0, v12, vcc_lo
	v_and_b32_e32 v14, 7, v9
	v_cmp_ne_u32_e32 vcc_lo, 0, v10
	v_lshrrev_b32_e32 v9, 2, v9
	v_cmp_gt_i32_e64 s1, 31, v20
	s_delay_alu instid0(VALU_DEP_4)
	v_cmp_eq_u32_e64 s0, 3, v14
	s_wait_alu 0xfffd
	v_cndmask_b32_e64 v10, 0, 1, vcc_lo
	v_cmp_lt_i32_e32 vcc_lo, 5, v14
	s_wait_alu 0xf1ff
	v_cndmask_b32_e64 v12, 0x7c00, v12, s1
	s_delay_alu instid0(VALU_DEP_3)
	v_lshl_or_b32 v10, v10, 9, 0x7c00
	s_or_b32 vcc_lo, s0, vcc_lo
	s_wait_alu 0xfffe
	v_add_co_ci_u32_e32 v9, vcc_lo, 0, v9, vcc_lo
	v_cmp_ne_u32_e32 vcc_lo, 0, v6
	s_wait_alu 0xfffd
	v_cndmask_b32_e64 v6, 0, 1, vcc_lo
	v_cmp_eq_u32_e32 vcc_lo, 0x40f, v20
	s_delay_alu instid0(VALU_DEP_2) | instskip(SKIP_4) | instid1(VALU_DEP_3)
	v_lshl_or_b32 v6, v6, 9, 0x7c00
	s_wait_alu 0xfffd
	v_cndmask_b32_e32 v10, v12, v10, vcc_lo
	v_cmp_gt_i32_e32 vcc_lo, 31, v19
	v_and_or_b32 v12, 0x8000, v1, v0
	v_and_or_b32 v10, 0x8000, v11, v10
	s_wait_alu 0xfffd
	v_cndmask_b32_e32 v9, 0x7c00, v9, vcc_lo
	v_cmp_eq_u32_e32 vcc_lo, 0x40f, v19
	v_lshl_or_b32 v11, v12, 16, v8
	s_wait_alu 0xfffd
	s_delay_alu instid0(VALU_DEP_3) | instskip(SKIP_3) | instid1(VALU_DEP_3)
	v_cndmask_b32_e32 v6, v9, v6, vcc_lo
	v_add_co_u32 v0, vcc_lo, v2, s2
	s_wait_alu 0xfffd
	v_add_co_ci_u32_e32 v1, vcc_lo, s3, v3, vcc_lo
	v_and_or_b32 v8, 0x8000, v7, v6
	v_and_b32_e32 v9, 0xffff, v10
	v_add_co_u32 v6, vcc_lo, v0, s2
	s_wait_alu 0xfffd
	v_add_co_ci_u32_e32 v7, vcc_lo, s3, v1, vcc_lo
	s_delay_alu instid0(VALU_DEP_3) | instskip(NEXT) | instid1(VALU_DEP_3)
	v_lshl_or_b32 v10, v8, 16, v9
	v_add_co_u32 v8, vcc_lo, v6, s2
	s_wait_alu 0xfffd
	s_delay_alu instid0(VALU_DEP_3)
	v_add_co_ci_u32_e32 v9, vcc_lo, s3, v7, vcc_lo
	global_store_b32 v[4:5], v16, off
	global_store_b32 v[2:3], v18, off
	;; [unrolled: 1-line block ×5, first 2 shown]
.LBB0_10:
	s_nop 0
	s_sendmsg sendmsg(MSG_DEALLOC_VGPRS)
	s_endpgm
	.section	.rodata,"a",@progbits
	.p2align	6, 0x0
	.amdhsa_kernel bluestein_single_back_len578_dim1_half_op_CI_CI
		.amdhsa_group_segment_fixed_size 16184
		.amdhsa_private_segment_fixed_size 0
		.amdhsa_kernarg_size 104
		.amdhsa_user_sgpr_count 2
		.amdhsa_user_sgpr_dispatch_ptr 0
		.amdhsa_user_sgpr_queue_ptr 0
		.amdhsa_user_sgpr_kernarg_segment_ptr 1
		.amdhsa_user_sgpr_dispatch_id 0
		.amdhsa_user_sgpr_private_segment_size 0
		.amdhsa_wavefront_size32 1
		.amdhsa_uses_dynamic_stack 0
		.amdhsa_enable_private_segment 0
		.amdhsa_system_sgpr_workgroup_id_x 1
		.amdhsa_system_sgpr_workgroup_id_y 0
		.amdhsa_system_sgpr_workgroup_id_z 0
		.amdhsa_system_sgpr_workgroup_info 0
		.amdhsa_system_vgpr_workitem_id 0
		.amdhsa_next_free_vgpr 236
		.amdhsa_next_free_sgpr 20
		.amdhsa_reserve_vcc 1
		.amdhsa_float_round_mode_32 0
		.amdhsa_float_round_mode_16_64 0
		.amdhsa_float_denorm_mode_32 3
		.amdhsa_float_denorm_mode_16_64 3
		.amdhsa_fp16_overflow 0
		.amdhsa_workgroup_processor_mode 1
		.amdhsa_memory_ordered 1
		.amdhsa_forward_progress 0
		.amdhsa_round_robin_scheduling 0
		.amdhsa_exception_fp_ieee_invalid_op 0
		.amdhsa_exception_fp_denorm_src 0
		.amdhsa_exception_fp_ieee_div_zero 0
		.amdhsa_exception_fp_ieee_overflow 0
		.amdhsa_exception_fp_ieee_underflow 0
		.amdhsa_exception_fp_ieee_inexact 0
		.amdhsa_exception_int_div_zero 0
	.end_amdhsa_kernel
	.text
.Lfunc_end0:
	.size	bluestein_single_back_len578_dim1_half_op_CI_CI, .Lfunc_end0-bluestein_single_back_len578_dim1_half_op_CI_CI
                                        ; -- End function
	.section	.AMDGPU.csdata,"",@progbits
; Kernel info:
; codeLenInByte = 40952
; NumSgprs: 22
; NumVgprs: 236
; ScratchSize: 0
; MemoryBound: 0
; FloatMode: 240
; IeeeMode: 1
; LDSByteSize: 16184 bytes/workgroup (compile time only)
; SGPRBlocks: 2
; VGPRBlocks: 29
; NumSGPRsForWavesPerEU: 22
; NumVGPRsForWavesPerEU: 236
; Occupancy: 6
; WaveLimiterHint : 1
; COMPUTE_PGM_RSRC2:SCRATCH_EN: 0
; COMPUTE_PGM_RSRC2:USER_SGPR: 2
; COMPUTE_PGM_RSRC2:TRAP_HANDLER: 0
; COMPUTE_PGM_RSRC2:TGID_X_EN: 1
; COMPUTE_PGM_RSRC2:TGID_Y_EN: 0
; COMPUTE_PGM_RSRC2:TGID_Z_EN: 0
; COMPUTE_PGM_RSRC2:TIDIG_COMP_CNT: 0
	.text
	.p2alignl 7, 3214868480
	.fill 96, 4, 3214868480
	.type	__hip_cuid_265e0c1a5774787,@object ; @__hip_cuid_265e0c1a5774787
	.section	.bss,"aw",@nobits
	.globl	__hip_cuid_265e0c1a5774787
__hip_cuid_265e0c1a5774787:
	.byte	0                               ; 0x0
	.size	__hip_cuid_265e0c1a5774787, 1

	.ident	"AMD clang version 19.0.0git (https://github.com/RadeonOpenCompute/llvm-project roc-6.4.0 25133 c7fe45cf4b819c5991fe208aaa96edf142730f1d)"
	.section	".note.GNU-stack","",@progbits
	.addrsig
	.addrsig_sym __hip_cuid_265e0c1a5774787
	.amdgpu_metadata
---
amdhsa.kernels:
  - .args:
      - .actual_access:  read_only
        .address_space:  global
        .offset:         0
        .size:           8
        .value_kind:     global_buffer
      - .actual_access:  read_only
        .address_space:  global
        .offset:         8
        .size:           8
        .value_kind:     global_buffer
      - .actual_access:  read_only
        .address_space:  global
        .offset:         16
        .size:           8
        .value_kind:     global_buffer
      - .actual_access:  read_only
        .address_space:  global
        .offset:         24
        .size:           8
        .value_kind:     global_buffer
      - .actual_access:  read_only
        .address_space:  global
        .offset:         32
        .size:           8
        .value_kind:     global_buffer
      - .offset:         40
        .size:           8
        .value_kind:     by_value
      - .address_space:  global
        .offset:         48
        .size:           8
        .value_kind:     global_buffer
      - .address_space:  global
        .offset:         56
        .size:           8
        .value_kind:     global_buffer
      - .address_space:  global
        .offset:         64
        .size:           8
        .value_kind:     global_buffer
      - .address_space:  global
        .offset:         72
        .size:           8
        .value_kind:     global_buffer
      - .offset:         80
        .size:           4
        .value_kind:     by_value
      - .address_space:  global
        .offset:         88
        .size:           8
        .value_kind:     global_buffer
      - .address_space:  global
        .offset:         96
        .size:           8
        .value_kind:     global_buffer
    .group_segment_fixed_size: 16184
    .kernarg_segment_align: 8
    .kernarg_segment_size: 104
    .language:       OpenCL C
    .language_version:
      - 2
      - 0
    .max_flat_workgroup_size: 238
    .name:           bluestein_single_back_len578_dim1_half_op_CI_CI
    .private_segment_fixed_size: 0
    .sgpr_count:     22
    .sgpr_spill_count: 0
    .symbol:         bluestein_single_back_len578_dim1_half_op_CI_CI.kd
    .uniform_work_group_size: 1
    .uses_dynamic_stack: false
    .vgpr_count:     236
    .vgpr_spill_count: 0
    .wavefront_size: 32
    .workgroup_processor_mode: 1
amdhsa.target:   amdgcn-amd-amdhsa--gfx1201
amdhsa.version:
  - 1
  - 2
...

	.end_amdgpu_metadata
